;; amdgpu-corpus repo=ROCm/rocFFT kind=compiled arch=gfx906 opt=O3
	.text
	.amdgcn_target "amdgcn-amd-amdhsa--gfx906"
	.amdhsa_code_object_version 6
	.protected	fft_rtc_back_len480_factors_10_8_6_wgs_64_tpt_16_halfLds_sp_ip_CI_unitstride_sbrr_C2R_dirReg ; -- Begin function fft_rtc_back_len480_factors_10_8_6_wgs_64_tpt_16_halfLds_sp_ip_CI_unitstride_sbrr_C2R_dirReg
	.globl	fft_rtc_back_len480_factors_10_8_6_wgs_64_tpt_16_halfLds_sp_ip_CI_unitstride_sbrr_C2R_dirReg
	.p2align	8
	.type	fft_rtc_back_len480_factors_10_8_6_wgs_64_tpt_16_halfLds_sp_ip_CI_unitstride_sbrr_C2R_dirReg,@function
fft_rtc_back_len480_factors_10_8_6_wgs_64_tpt_16_halfLds_sp_ip_CI_unitstride_sbrr_C2R_dirReg: ; @fft_rtc_back_len480_factors_10_8_6_wgs_64_tpt_16_halfLds_sp_ip_CI_unitstride_sbrr_C2R_dirReg
; %bb.0:
	s_load_dwordx2 s[12:13], s[4:5], 0x50
	s_load_dwordx4 s[8:11], s[4:5], 0x0
	s_load_dwordx2 s[2:3], s[4:5], 0x18
	v_lshrrev_b32_e32 v9, 4, v0
	v_mov_b32_e32 v3, 0
	v_mov_b32_e32 v1, 0
	s_waitcnt lgkmcnt(0)
	v_cmp_lt_u64_e64 s[0:1], s[10:11], 2
	v_lshl_or_b32 v5, s6, 2, v9
	v_mov_b32_e32 v6, v3
	s_and_b64 vcc, exec, s[0:1]
	v_mov_b32_e32 v2, 0
	s_cbranch_vccnz .LBB0_8
; %bb.1:
	s_load_dwordx2 s[0:1], s[4:5], 0x10
	s_add_u32 s6, s2, 8
	s_addc_u32 s7, s3, 0
	v_mov_b32_e32 v1, 0
	v_mov_b32_e32 v2, 0
	s_waitcnt lgkmcnt(0)
	s_add_u32 s14, s0, 8
	s_addc_u32 s15, s1, 0
	s_mov_b64 s[16:17], 1
.LBB0_2:                                ; =>This Inner Loop Header: Depth=1
	s_load_dwordx2 s[18:19], s[14:15], 0x0
                                        ; implicit-def: $vgpr7_vgpr8
	s_waitcnt lgkmcnt(0)
	v_or_b32_e32 v4, s19, v6
	v_cmp_ne_u64_e32 vcc, 0, v[3:4]
	s_and_saveexec_b64 s[0:1], vcc
	s_xor_b64 s[20:21], exec, s[0:1]
	s_cbranch_execz .LBB0_4
; %bb.3:                                ;   in Loop: Header=BB0_2 Depth=1
	v_cvt_f32_u32_e32 v4, s18
	v_cvt_f32_u32_e32 v7, s19
	s_sub_u32 s0, 0, s18
	s_subb_u32 s1, 0, s19
	v_mac_f32_e32 v4, 0x4f800000, v7
	v_rcp_f32_e32 v4, v4
	v_mul_f32_e32 v4, 0x5f7ffffc, v4
	v_mul_f32_e32 v7, 0x2f800000, v4
	v_trunc_f32_e32 v7, v7
	v_mac_f32_e32 v4, 0xcf800000, v7
	v_cvt_u32_f32_e32 v7, v7
	v_cvt_u32_f32_e32 v4, v4
	v_mul_lo_u32 v8, s0, v7
	v_mul_hi_u32 v10, s0, v4
	v_mul_lo_u32 v12, s1, v4
	v_mul_lo_u32 v11, s0, v4
	v_add_u32_e32 v8, v10, v8
	v_add_u32_e32 v8, v8, v12
	v_mul_hi_u32 v10, v4, v11
	v_mul_lo_u32 v12, v4, v8
	v_mul_hi_u32 v14, v4, v8
	v_mul_hi_u32 v13, v7, v11
	v_mul_lo_u32 v11, v7, v11
	v_mul_hi_u32 v15, v7, v8
	v_add_co_u32_e32 v10, vcc, v10, v12
	v_addc_co_u32_e32 v12, vcc, 0, v14, vcc
	v_mul_lo_u32 v8, v7, v8
	v_add_co_u32_e32 v10, vcc, v10, v11
	v_addc_co_u32_e32 v10, vcc, v12, v13, vcc
	v_addc_co_u32_e32 v11, vcc, 0, v15, vcc
	v_add_co_u32_e32 v8, vcc, v10, v8
	v_addc_co_u32_e32 v10, vcc, 0, v11, vcc
	v_add_co_u32_e32 v4, vcc, v4, v8
	v_addc_co_u32_e32 v7, vcc, v7, v10, vcc
	v_mul_lo_u32 v8, s0, v7
	v_mul_hi_u32 v10, s0, v4
	v_mul_lo_u32 v11, s1, v4
	v_mul_lo_u32 v12, s0, v4
	v_add_u32_e32 v8, v10, v8
	v_add_u32_e32 v8, v8, v11
	v_mul_lo_u32 v13, v4, v8
	v_mul_hi_u32 v14, v4, v12
	v_mul_hi_u32 v15, v4, v8
	;; [unrolled: 1-line block ×3, first 2 shown]
	v_mul_lo_u32 v12, v7, v12
	v_mul_hi_u32 v10, v7, v8
	v_add_co_u32_e32 v13, vcc, v14, v13
	v_addc_co_u32_e32 v14, vcc, 0, v15, vcc
	v_mul_lo_u32 v8, v7, v8
	v_add_co_u32_e32 v12, vcc, v13, v12
	v_addc_co_u32_e32 v11, vcc, v14, v11, vcc
	v_addc_co_u32_e32 v10, vcc, 0, v10, vcc
	v_add_co_u32_e32 v8, vcc, v11, v8
	v_addc_co_u32_e32 v10, vcc, 0, v10, vcc
	v_add_co_u32_e32 v4, vcc, v4, v8
	v_addc_co_u32_e32 v10, vcc, v7, v10, vcc
	v_mad_u64_u32 v[7:8], s[0:1], v5, v10, 0
	v_mul_hi_u32 v11, v5, v4
	v_add_co_u32_e32 v12, vcc, v11, v7
	v_addc_co_u32_e32 v13, vcc, 0, v8, vcc
	v_mad_u64_u32 v[7:8], s[0:1], v6, v4, 0
	v_mad_u64_u32 v[10:11], s[0:1], v6, v10, 0
	v_add_co_u32_e32 v4, vcc, v12, v7
	v_addc_co_u32_e32 v4, vcc, v13, v8, vcc
	v_addc_co_u32_e32 v7, vcc, 0, v11, vcc
	v_add_co_u32_e32 v4, vcc, v4, v10
	v_addc_co_u32_e32 v10, vcc, 0, v7, vcc
	v_mul_lo_u32 v11, s19, v4
	v_mul_lo_u32 v12, s18, v10
	v_mad_u64_u32 v[7:8], s[0:1], s18, v4, 0
	v_add3_u32 v8, v8, v12, v11
	v_sub_u32_e32 v11, v6, v8
	v_mov_b32_e32 v12, s19
	v_sub_co_u32_e32 v7, vcc, v5, v7
	v_subb_co_u32_e64 v11, s[0:1], v11, v12, vcc
	v_subrev_co_u32_e64 v12, s[0:1], s18, v7
	v_subbrev_co_u32_e64 v11, s[0:1], 0, v11, s[0:1]
	v_cmp_le_u32_e64 s[0:1], s19, v11
	v_cndmask_b32_e64 v13, 0, -1, s[0:1]
	v_cmp_le_u32_e64 s[0:1], s18, v12
	v_cndmask_b32_e64 v12, 0, -1, s[0:1]
	v_cmp_eq_u32_e64 s[0:1], s19, v11
	v_cndmask_b32_e64 v11, v13, v12, s[0:1]
	v_add_co_u32_e64 v12, s[0:1], 2, v4
	v_addc_co_u32_e64 v13, s[0:1], 0, v10, s[0:1]
	v_add_co_u32_e64 v14, s[0:1], 1, v4
	v_addc_co_u32_e64 v15, s[0:1], 0, v10, s[0:1]
	v_subb_co_u32_e32 v8, vcc, v6, v8, vcc
	v_cmp_ne_u32_e64 s[0:1], 0, v11
	v_cmp_le_u32_e32 vcc, s19, v8
	v_cndmask_b32_e64 v11, v15, v13, s[0:1]
	v_cndmask_b32_e64 v13, 0, -1, vcc
	v_cmp_le_u32_e32 vcc, s18, v7
	v_cndmask_b32_e64 v7, 0, -1, vcc
	v_cmp_eq_u32_e32 vcc, s19, v8
	v_cndmask_b32_e32 v7, v13, v7, vcc
	v_cmp_ne_u32_e32 vcc, 0, v7
	v_cndmask_b32_e64 v7, v14, v12, s[0:1]
	v_cndmask_b32_e32 v8, v10, v11, vcc
	v_cndmask_b32_e32 v7, v4, v7, vcc
.LBB0_4:                                ;   in Loop: Header=BB0_2 Depth=1
	s_andn2_saveexec_b64 s[0:1], s[20:21]
	s_cbranch_execz .LBB0_6
; %bb.5:                                ;   in Loop: Header=BB0_2 Depth=1
	v_cvt_f32_u32_e32 v4, s18
	s_sub_i32 s20, 0, s18
	v_rcp_iflag_f32_e32 v4, v4
	v_mul_f32_e32 v4, 0x4f7ffffe, v4
	v_cvt_u32_f32_e32 v4, v4
	v_mul_lo_u32 v7, s20, v4
	v_mul_hi_u32 v7, v4, v7
	v_add_u32_e32 v4, v4, v7
	v_mul_hi_u32 v4, v5, v4
	v_mul_lo_u32 v7, v4, s18
	v_add_u32_e32 v8, 1, v4
	v_sub_u32_e32 v7, v5, v7
	v_subrev_u32_e32 v10, s18, v7
	v_cmp_le_u32_e32 vcc, s18, v7
	v_cndmask_b32_e32 v7, v7, v10, vcc
	v_cndmask_b32_e32 v4, v4, v8, vcc
	v_add_u32_e32 v8, 1, v4
	v_cmp_le_u32_e32 vcc, s18, v7
	v_cndmask_b32_e32 v7, v4, v8, vcc
	v_mov_b32_e32 v8, v3
.LBB0_6:                                ;   in Loop: Header=BB0_2 Depth=1
	s_or_b64 exec, exec, s[0:1]
	v_mul_lo_u32 v4, v8, s18
	v_mul_lo_u32 v12, v7, s19
	v_mad_u64_u32 v[10:11], s[0:1], v7, s18, 0
	s_load_dwordx2 s[0:1], s[6:7], 0x0
	s_add_u32 s16, s16, 1
	v_add3_u32 v4, v11, v12, v4
	v_sub_co_u32_e32 v5, vcc, v5, v10
	v_subb_co_u32_e32 v4, vcc, v6, v4, vcc
	s_waitcnt lgkmcnt(0)
	v_mul_lo_u32 v4, s0, v4
	v_mul_lo_u32 v6, s1, v5
	v_mad_u64_u32 v[1:2], s[0:1], s0, v5, v[1:2]
	s_addc_u32 s17, s17, 0
	s_add_u32 s6, s6, 8
	v_add3_u32 v2, v6, v2, v4
	v_mov_b32_e32 v4, s10
	v_mov_b32_e32 v5, s11
	s_addc_u32 s7, s7, 0
	v_cmp_ge_u64_e32 vcc, s[16:17], v[4:5]
	s_add_u32 s14, s14, 8
	s_addc_u32 s15, s15, 0
	s_cbranch_vccnz .LBB0_9
; %bb.7:                                ;   in Loop: Header=BB0_2 Depth=1
	v_mov_b32_e32 v5, v7
	v_mov_b32_e32 v6, v8
	s_branch .LBB0_2
.LBB0_8:
	v_mov_b32_e32 v8, v6
	v_mov_b32_e32 v7, v5
.LBB0_9:
	s_lshl_b64 s[0:1], s[10:11], 3
	s_add_u32 s0, s2, s0
	s_addc_u32 s1, s3, s1
	s_load_dwordx2 s[2:3], s[0:1], 0x0
	s_load_dwordx2 s[6:7], s[4:5], 0x20
	v_mul_u32_u24_e32 v69, 0x1e1, v9
	v_and_b32_e32 v60, 15, v0
	v_lshlrev_b32_e32 v71, 3, v69
	s_waitcnt lgkmcnt(0)
	v_mul_lo_u32 v3, s2, v8
	v_mul_lo_u32 v4, s3, v7
	v_mad_u64_u32 v[1:2], s[0:1], s2, v7, v[1:2]
	v_cmp_gt_u64_e32 vcc, s[6:7], v[7:8]
	v_add3_u32 v2, v4, v2, v3
	v_lshlrev_b64 v[62:63], 3, v[1:2]
	s_and_saveexec_b64 s[2:3], vcc
	s_cbranch_execz .LBB0_13
; %bb.10:
	v_mov_b32_e32 v1, s13
	v_add_co_u32_e64 v0, s[0:1], s12, v62
	v_addc_co_u32_e64 v1, s[0:1], v1, v63, s[0:1]
	v_lshlrev_b32_e32 v61, 3, v60
	v_add_co_u32_e64 v2, s[0:1], v0, v61
	v_addc_co_u32_e64 v3, s[0:1], 0, v1, s[0:1]
	global_load_dwordx2 v[4:5], v[2:3], off
	global_load_dwordx2 v[6:7], v[2:3], off offset:128
	global_load_dwordx2 v[8:9], v[2:3], off offset:256
	;; [unrolled: 1-line block ×29, first 2 shown]
	v_add3_u32 v2, 0, v71, v61
	v_cmp_eq_u32_e64 s[0:1], 15, v60
	v_add_u32_e32 v3, 0x800, v2
	s_waitcnt vmcnt(28)
	ds_write2_b64 v2, v[4:5], v[6:7] offset1:16
	s_waitcnt vmcnt(26)
	ds_write2_b64 v2, v[8:9], v[10:11] offset0:32 offset1:48
	s_waitcnt vmcnt(24)
	ds_write2_b64 v2, v[12:13], v[14:15] offset0:64 offset1:80
	;; [unrolled: 2-line block ×7, first 2 shown]
	s_waitcnt vmcnt(12)
	ds_write2_b64 v3, v[36:37], v[38:39] offset1:16
	s_waitcnt vmcnt(10)
	ds_write2_b64 v3, v[40:41], v[42:43] offset0:32 offset1:48
	s_waitcnt vmcnt(8)
	ds_write2_b64 v3, v[44:45], v[46:47] offset0:64 offset1:80
	;; [unrolled: 2-line block ×6, first 2 shown]
	s_and_saveexec_b64 s[4:5], s[0:1]
	s_cbranch_execz .LBB0_12
; %bb.11:
	global_load_dwordx2 v[0:1], v[0:1], off offset:3840
	v_mov_b32_e32 v60, 15
	s_waitcnt vmcnt(0)
	ds_write_b64 v2, v[0:1] offset:3720
.LBB0_12:
	s_or_b64 exec, exec, s[4:5]
.LBB0_13:
	s_or_b64 exec, exec, s[2:3]
	v_lshl_add_u32 v68, v69, 3, 0
	v_lshlrev_b32_e32 v7, 3, v60
	v_add_u32_e32 v70, v68, v7
	s_waitcnt lgkmcnt(0)
	; wave barrier
	s_waitcnt lgkmcnt(0)
	v_sub_u32_e32 v4, v68, v7
	ds_read_b32 v5, v70
	ds_read_b32 v6, v4 offset:3840
	v_cmp_ne_u32_e64 s[0:1], 0, v60
                                        ; implicit-def: $vgpr0_vgpr1
	s_waitcnt lgkmcnt(0)
	v_add_f32_e32 v2, v6, v5
	v_sub_f32_e32 v3, v5, v6
	s_and_saveexec_b64 s[2:3], s[0:1]
	s_xor_b64 s[0:1], exec, s[2:3]
	s_cbranch_execz .LBB0_15
; %bb.14:
	global_load_dwordx2 v[0:1], v7, s[8:9] offset:3760
	ds_read_b32 v2, v4 offset:3844
	ds_read_b32 v3, v70 offset:4
	v_add_f32_e32 v7, v6, v5
	v_sub_f32_e32 v8, v5, v6
	v_mov_b32_e32 v61, 0
	s_waitcnt lgkmcnt(0)
	v_add_f32_e32 v9, v2, v3
	v_sub_f32_e32 v2, v3, v2
	s_waitcnt vmcnt(0)
	v_fma_f32 v10, v8, v1, v7
	v_fma_f32 v3, v9, v1, v2
	v_fma_f32 v5, -v8, v1, v7
	v_fma_f32 v6, v9, v1, -v2
	v_fma_f32 v2, -v0, v9, v10
	v_fmac_f32_e32 v3, v8, v0
	v_fmac_f32_e32 v5, v0, v9
	;; [unrolled: 1-line block ×3, first 2 shown]
	v_mov_b32_e32 v0, v60
	ds_write_b64 v4, v[5:6] offset:3840
	v_mov_b32_e32 v1, v61
.LBB0_15:
	s_andn2_saveexec_b64 s[0:1], s[0:1]
	s_cbranch_execz .LBB0_17
; %bb.16:
	ds_read_b64 v[0:1], v68 offset:1920
	s_waitcnt lgkmcnt(0)
	v_add_f32_e32 v5, v0, v0
	v_mul_f32_e32 v6, -2.0, v1
	v_mov_b32_e32 v0, 0
	v_mov_b32_e32 v1, 0
	ds_write_b64 v68, v[5:6] offset:1920
.LBB0_17:
	s_or_b64 exec, exec, s[0:1]
	s_add_u32 s0, s8, 0xeb0
	v_lshlrev_b64 v[0:1], 3, v[0:1]
	s_addc_u32 s1, s9, 0
	v_mov_b32_e32 v5, s1
	v_add_co_u32_e64 v0, s[0:1], s0, v0
	v_addc_co_u32_e64 v1, s[0:1], v5, v1, s[0:1]
	global_load_dwordx2 v[5:6], v[0:1], off offset:128
	global_load_dwordx2 v[7:8], v[0:1], off offset:256
	;; [unrolled: 1-line block ×4, first 2 shown]
	ds_write_b64 v70, v[2:3]
	ds_read_b64 v[2:3], v70 offset:128
	ds_read_b64 v[13:14], v4 offset:3712
	global_load_dwordx2 v[15:16], v[0:1], off offset:640
	v_lshl_add_u32 v72, v60, 3, 0
	v_add_u32_e32 v61, v72, v71
	v_add_u32_e32 v73, 0x800, v61
	s_waitcnt lgkmcnt(0)
	v_add_f32_e32 v17, v2, v13
	v_add_f32_e32 v18, v14, v3
	v_sub_f32_e32 v19, v2, v13
	v_sub_f32_e32 v2, v3, v14
	v_cmp_gt_u32_e64 s[0:1], 12, v60
	s_waitcnt vmcnt(4)
	v_fma_f32 v20, v19, v6, v17
	v_fma_f32 v3, v18, v6, v2
	v_fma_f32 v13, -v19, v6, v17
	v_fma_f32 v14, v18, v6, -v2
	v_fma_f32 v2, -v5, v18, v20
	v_fmac_f32_e32 v3, v19, v5
	v_fmac_f32_e32 v13, v5, v18
	v_fmac_f32_e32 v14, v19, v5
	ds_write_b64 v70, v[2:3] offset:128
	ds_write_b64 v4, v[13:14] offset:3712
	ds_read_b64 v[2:3], v70 offset:256
	ds_read_b64 v[5:6], v4 offset:3584
	global_load_dwordx2 v[13:14], v[0:1], off offset:768
	s_waitcnt lgkmcnt(0)
	v_add_f32_e32 v17, v2, v5
	v_add_f32_e32 v18, v6, v3
	v_sub_f32_e32 v19, v2, v5
	v_sub_f32_e32 v2, v3, v6
	s_waitcnt vmcnt(4)
	v_fma_f32 v20, v19, v8, v17
	v_fma_f32 v3, v18, v8, v2
	v_fma_f32 v5, -v19, v8, v17
	v_fma_f32 v6, v18, v8, -v2
	v_fma_f32 v2, -v7, v18, v20
	v_fmac_f32_e32 v3, v19, v7
	v_fmac_f32_e32 v5, v7, v18
	v_fmac_f32_e32 v6, v19, v7
	ds_write_b64 v70, v[2:3] offset:256
	ds_write_b64 v4, v[5:6] offset:3584
	ds_read_b64 v[2:3], v70 offset:384
	ds_read_b64 v[5:6], v4 offset:3456
	global_load_dwordx2 v[7:8], v[0:1], off offset:896
	s_waitcnt lgkmcnt(0)
	v_add_f32_e32 v17, v2, v5
	v_add_f32_e32 v18, v6, v3
	v_sub_f32_e32 v19, v2, v5
	v_sub_f32_e32 v2, v3, v6
	;; [unrolled: 19-line block ×8, first 2 shown]
	s_waitcnt vmcnt(4)
	v_fma_f32 v2, v5, v12, v17
	v_fma_f32 v3, v18, v12, v6
	v_fma_f32 v2, -v11, v18, v2
	v_fmac_f32_e32 v3, v5, v11
	ds_write_b64 v70, v[2:3] offset:1152
	v_fma_f32 v2, -v5, v12, v17
	v_fma_f32 v3, v18, v12, -v6
	v_fmac_f32_e32 v2, v11, v18
	v_fmac_f32_e32 v3, v5, v11
	ds_write_b64 v4, v[2:3] offset:2688
	ds_read_b64 v[2:3], v70 offset:1280
	ds_read_b64 v[5:6], v4 offset:2560
	global_load_dwordx2 v[0:1], v[0:1], off offset:1792
	s_waitcnt lgkmcnt(0)
	v_add_f32_e32 v11, v2, v5
	v_add_f32_e32 v12, v6, v3
	v_sub_f32_e32 v5, v2, v5
	v_sub_f32_e32 v6, v3, v6
	s_waitcnt vmcnt(4)
	v_fma_f32 v2, v5, v16, v11
	v_fma_f32 v3, v12, v16, v6
	v_fma_f32 v2, -v15, v12, v2
	v_fmac_f32_e32 v3, v5, v15
	ds_write_b64 v70, v[2:3] offset:1280
	v_fma_f32 v2, -v5, v16, v11
	v_fma_f32 v3, v12, v16, -v6
	v_fmac_f32_e32 v2, v15, v12
	v_fmac_f32_e32 v3, v5, v15
	ds_write_b64 v4, v[2:3] offset:2560
	ds_read_b64 v[2:3], v70 offset:1408
	ds_read_b64 v[5:6], v4 offset:2432
	s_waitcnt lgkmcnt(0)
	v_add_f32_e32 v11, v2, v5
	v_add_f32_e32 v12, v6, v3
	v_sub_f32_e32 v5, v2, v5
	v_sub_f32_e32 v6, v3, v6
	s_waitcnt vmcnt(3)
	v_fma_f32 v2, v5, v14, v11
	v_fma_f32 v3, v12, v14, v6
	v_fma_f32 v2, -v13, v12, v2
	v_fmac_f32_e32 v3, v5, v13
	ds_write_b64 v70, v[2:3] offset:1408
	v_fma_f32 v2, -v5, v14, v11
	v_fma_f32 v3, v12, v14, -v6
	v_fmac_f32_e32 v2, v13, v12
	v_fmac_f32_e32 v3, v5, v13
	ds_write_b64 v4, v[2:3] offset:2432
	ds_read_b64 v[2:3], v70 offset:1536
	ds_read_b64 v[5:6], v4 offset:2304
	;; [unrolled: 18-line block ×4, first 2 shown]
	s_waitcnt lgkmcnt(0)
	v_add_f32_e32 v7, v2, v5
	v_add_f32_e32 v8, v6, v3
	v_sub_f32_e32 v5, v2, v5
	v_sub_f32_e32 v6, v3, v6
	s_waitcnt vmcnt(0)
	v_fma_f32 v2, v5, v1, v7
	v_fma_f32 v3, v8, v1, v6
	v_fma_f32 v2, -v0, v8, v2
	v_fmac_f32_e32 v3, v5, v0
	ds_write_b64 v70, v[2:3] offset:1792
	v_fma_f32 v2, -v5, v1, v7
	v_fma_f32 v3, v8, v1, -v6
	v_fmac_f32_e32 v2, v0, v8
	v_fmac_f32_e32 v3, v5, v0
	ds_write_b64 v4, v[2:3] offset:2048
	s_waitcnt lgkmcnt(0)
	; wave barrier
	s_waitcnt lgkmcnt(0)
	s_waitcnt lgkmcnt(0)
	; wave barrier
	s_waitcnt lgkmcnt(0)
	ds_read2_b64 v[50:53], v61 offset0:48 offset1:64
	ds_read2_b64 v[0:3], v61 offset0:80 offset1:96
	;; [unrolled: 1-line block ×4, first 2 shown]
	v_add_u32_e32 v4, 0x400, v61
	ds_read2_b64 v[64:67], v4 offset0:112 offset1:128
	ds_read2_b64 v[14:17], v73 offset0:16 offset1:32
	;; [unrolled: 1-line block ×7, first 2 shown]
	ds_read_b64 v[46:47], v70
	ds_read2_b64 v[26:29], v61 offset0:208 offset1:224
	ds_read2_b64 v[30:33], v73 offset0:48 offset1:64
	;; [unrolled: 1-line block ×3, first 2 shown]
	ds_read_b64 v[4:5], v61 offset:3712
	s_waitcnt lgkmcnt(4)
	v_add_f32_e32 v38, v46, v2
	v_add_f32_e32 v38, v38, v12
	;; [unrolled: 1-line block ×5, first 2 shown]
	v_fma_f32 v43, -0.5, v38, v46
	v_sub_f32_e32 v38, v3, v21
	v_mov_b32_e32 v45, v43
	v_fmac_f32_e32 v45, 0xbf737871, v38
	v_sub_f32_e32 v39, v13, v17
	v_sub_f32_e32 v40, v2, v12
	;; [unrolled: 1-line block ×3, first 2 shown]
	v_fmac_f32_e32 v43, 0x3f737871, v38
	v_fmac_f32_e32 v45, 0xbf167918, v39
	v_add_f32_e32 v40, v40, v41
	v_fmac_f32_e32 v43, 0x3f167918, v39
	v_fmac_f32_e32 v45, 0x3e9e377a, v40
	;; [unrolled: 1-line block ×3, first 2 shown]
	v_add_f32_e32 v40, v2, v20
	v_fma_f32 v46, -0.5, v40, v46
	v_mov_b32_e32 v48, v46
	v_fmac_f32_e32 v48, 0x3f737871, v39
	v_fmac_f32_e32 v46, 0xbf737871, v39
	;; [unrolled: 1-line block ×4, first 2 shown]
	v_add_f32_e32 v38, v47, v3
	v_add_f32_e32 v38, v38, v13
	;; [unrolled: 1-line block ×5, first 2 shown]
	v_fma_f32 v58, -0.5, v38, v47
	v_sub_f32_e32 v40, v12, v2
	v_sub_f32_e32 v2, v2, v20
	v_mov_b32_e32 v59, v58
	v_sub_f32_e32 v41, v16, v20
	v_fmac_f32_e32 v59, 0x3f737871, v2
	v_sub_f32_e32 v12, v12, v16
	v_sub_f32_e32 v16, v3, v13
	v_sub_f32_e32 v20, v21, v17
	v_fmac_f32_e32 v58, 0xbf737871, v2
	v_fmac_f32_e32 v59, 0x3f167918, v12
	v_add_f32_e32 v16, v16, v20
	v_fmac_f32_e32 v58, 0xbf167918, v12
	v_fmac_f32_e32 v59, 0x3e9e377a, v16
	;; [unrolled: 1-line block ×3, first 2 shown]
	v_add_f32_e32 v16, v3, v21
	v_fmac_f32_e32 v47, -0.5, v16
	v_mov_b32_e32 v82, v47
	v_fmac_f32_e32 v82, 0xbf737871, v12
	v_sub_f32_e32 v3, v13, v3
	v_sub_f32_e32 v13, v17, v21
	v_fmac_f32_e32 v47, 0x3f737871, v12
	v_fmac_f32_e32 v82, 0x3f167918, v2
	v_add_f32_e32 v3, v3, v13
	v_fmac_f32_e32 v47, 0xbf167918, v2
	v_fmac_f32_e32 v82, 0x3e9e377a, v3
	;; [unrolled: 1-line block ×3, first 2 shown]
	v_add_f32_e32 v3, v64, v74
	v_fma_f32 v3, -0.5, v3, v50
	v_sub_f32_e32 v12, v55, v79
	v_mov_b32_e32 v17, v3
	v_fmac_f32_e32 v17, 0xbf737871, v12
	v_sub_f32_e32 v13, v65, v75
	v_sub_f32_e32 v16, v54, v64
	;; [unrolled: 1-line block ×3, first 2 shown]
	v_fmac_f32_e32 v3, 0x3f737871, v12
	v_fmac_f32_e32 v17, 0xbf167918, v13
	v_add_f32_e32 v16, v16, v20
	v_fmac_f32_e32 v3, 0x3f167918, v13
	v_fmac_f32_e32 v17, 0x3e9e377a, v16
	;; [unrolled: 1-line block ×3, first 2 shown]
	v_add_f32_e32 v16, v54, v78
	v_fma_f32 v39, -0.5, v16, v50
	v_mov_b32_e32 v21, v39
	v_fmac_f32_e32 v21, 0x3f737871, v13
	v_fmac_f32_e32 v39, 0xbf737871, v13
	;; [unrolled: 1-line block ×4, first 2 shown]
	v_add_f32_e32 v12, v51, v55
	v_add_f32_e32 v12, v12, v65
	;; [unrolled: 1-line block ×6, first 2 shown]
	v_sub_f32_e32 v16, v64, v54
	v_sub_f32_e32 v20, v74, v78
	v_fma_f32 v41, -0.5, v12, v51
	v_add_f32_e32 v16, v16, v20
	v_sub_f32_e32 v12, v54, v78
	v_mov_b32_e32 v44, v41
	v_fmac_f32_e32 v21, 0x3e9e377a, v16
	v_fmac_f32_e32 v39, 0x3e9e377a, v16
	;; [unrolled: 1-line block ×3, first 2 shown]
	v_sub_f32_e32 v13, v64, v74
	v_sub_f32_e32 v16, v55, v65
	;; [unrolled: 1-line block ×3, first 2 shown]
	v_fmac_f32_e32 v41, 0xbf737871, v12
	v_fmac_f32_e32 v44, 0x3f167918, v13
	v_add_f32_e32 v16, v16, v20
	v_fmac_f32_e32 v41, 0xbf167918, v13
	v_fmac_f32_e32 v44, 0x3e9e377a, v16
	;; [unrolled: 1-line block ×3, first 2 shown]
	v_add_f32_e32 v16, v55, v79
	v_add_f32_e32 v2, v50, v54
	v_fma_f32 v50, -0.5, v16, v51
	v_mov_b32_e32 v51, v50
	v_add_f32_e32 v2, v2, v64
	v_fmac_f32_e32 v51, 0xbf737871, v13
	v_sub_f32_e32 v16, v65, v55
	v_sub_f32_e32 v20, v75, v79
	v_add_f32_e32 v2, v2, v74
	v_fmac_f32_e32 v51, 0x3f167918, v12
	v_add_f32_e32 v16, v16, v20
	v_fmac_f32_e32 v50, 0x3f737871, v13
	;; [unrolled: 2-line block ×3, first 2 shown]
	v_fmac_f32_e32 v50, 0xbf167918, v12
	v_mul_f32_e32 v65, 0xbf167918, v41
	v_mul_f32_e32 v78, 0xbf4f1bbd, v41
	v_fmac_f32_e32 v50, 0x3e9e377a, v16
	v_mul_f32_e32 v54, 0xbf167918, v44
	v_mul_f32_e32 v55, 0xbf737871, v51
	v_fmac_f32_e32 v65, 0xbf4f1bbd, v3
	v_fmac_f32_e32 v78, 0x3f167918, v3
	s_waitcnt lgkmcnt(2)
	v_add_f32_e32 v3, v26, v30
	v_fmac_f32_e32 v48, 0x3e9e377a, v40
	v_fmac_f32_e32 v54, 0x3f4f1bbd, v17
	;; [unrolled: 1-line block ×3, first 2 shown]
	v_mul_f32_e32 v64, 0xbf737871, v50
	v_mul_f32_e32 v74, 0x3f167918, v17
	;; [unrolled: 1-line block ×3, first 2 shown]
	v_fma_f32 v3, -0.5, v3, v6
	v_fmac_f32_e32 v46, 0x3e9e377a, v40
	v_add_f32_e32 v12, v42, v2
	v_add_f32_e32 v16, v45, v54
	;; [unrolled: 1-line block ×3, first 2 shown]
	v_fmac_f32_e32 v64, 0xbe9e377a, v39
	v_fmac_f32_e32 v74, 0x3f4f1bbd, v44
	;; [unrolled: 1-line block ×3, first 2 shown]
	v_sub_f32_e32 v44, v42, v2
	v_sub_f32_e32 v42, v45, v54
	;; [unrolled: 1-line block ×3, first 2 shown]
	s_waitcnt lgkmcnt(1)
	v_sub_f32_e32 v54, v23, v35
	v_mov_b32_e32 v55, v3
	v_add_f32_e32 v38, v46, v64
	v_add_f32_e32 v40, v43, v65
	v_add_f32_e32 v13, v49, v83
	v_add_f32_e32 v17, v59, v74
	v_add_f32_e32 v21, v82, v51
	v_mul_f32_e32 v75, 0xbe9e377a, v50
	v_add_f32_e32 v41, v58, v78
	v_sub_f32_e32 v46, v46, v64
	v_sub_f32_e32 v50, v43, v65
	;; [unrolled: 1-line block ×6, first 2 shown]
	v_fmac_f32_e32 v55, 0xbf737871, v54
	v_sub_f32_e32 v58, v27, v31
	v_sub_f32_e32 v59, v22, v26
	;; [unrolled: 1-line block ×3, first 2 shown]
	v_fmac_f32_e32 v3, 0x3f737871, v54
	v_fmac_f32_e32 v55, 0xbf167918, v58
	v_add_f32_e32 v59, v59, v64
	v_fmac_f32_e32 v3, 0x3f167918, v58
	v_fmac_f32_e32 v55, 0x3e9e377a, v59
	;; [unrolled: 1-line block ×3, first 2 shown]
	v_add_f32_e32 v59, v22, v34
	v_add_f32_e32 v2, v6, v22
	v_fma_f32 v6, -0.5, v59, v6
	v_mov_b32_e32 v59, v6
	v_fmac_f32_e32 v59, 0x3f737871, v58
	v_fmac_f32_e32 v6, 0xbf737871, v58
	;; [unrolled: 1-line block ×4, first 2 shown]
	v_add_f32_e32 v54, v7, v23
	v_add_f32_e32 v54, v54, v27
	v_sub_f32_e32 v64, v26, v22
	v_sub_f32_e32 v65, v30, v34
	v_add_f32_e32 v54, v54, v31
	v_add_f32_e32 v64, v64, v65
	;; [unrolled: 1-line block ×4, first 2 shown]
	v_fmac_f32_e32 v75, 0x3f737871, v39
	v_add_f32_e32 v2, v2, v26
	v_fma_f32 v74, -0.5, v54, v7
	v_add_f32_e32 v39, v47, v75
	v_sub_f32_e32 v47, v47, v75
	v_add_f32_e32 v2, v2, v30
	v_sub_f32_e32 v22, v22, v34
	v_mov_b32_e32 v75, v74
	v_add_f32_e32 v2, v2, v34
	v_fmac_f32_e32 v75, 0x3f737871, v22
	v_sub_f32_e32 v26, v26, v30
	v_sub_f32_e32 v30, v23, v27
	;; [unrolled: 1-line block ×3, first 2 shown]
	v_fmac_f32_e32 v74, 0xbf737871, v22
	v_fmac_f32_e32 v75, 0x3f167918, v26
	v_add_f32_e32 v30, v30, v34
	v_fmac_f32_e32 v74, 0xbf167918, v26
	v_fmac_f32_e32 v75, 0x3e9e377a, v30
	;; [unrolled: 1-line block ×3, first 2 shown]
	v_add_f32_e32 v30, v23, v35
	v_fma_f32 v7, -0.5, v30, v7
	v_mov_b32_e32 v78, v7
	v_fmac_f32_e32 v78, 0xbf737871, v26
	v_fmac_f32_e32 v7, 0x3f737871, v26
	;; [unrolled: 1-line block ×4, first 2 shown]
	v_add_f32_e32 v22, v52, v56
	v_add_f32_e32 v22, v22, v66
	;; [unrolled: 1-line block ×5, first 2 shown]
	v_sub_f32_e32 v23, v27, v23
	v_sub_f32_e32 v27, v31, v35
	v_fma_f32 v58, -0.5, v22, v52
	v_add_f32_e32 v23, v23, v27
	v_sub_f32_e32 v22, v57, v81
	v_mov_b32_e32 v27, v58
	v_fmac_f32_e32 v78, 0x3e9e377a, v23
	v_fmac_f32_e32 v7, 0x3e9e377a, v23
	v_fmac_f32_e32 v27, 0xbf737871, v22
	v_sub_f32_e32 v23, v67, v77
	v_sub_f32_e32 v26, v56, v66
	;; [unrolled: 1-line block ×3, first 2 shown]
	v_fmac_f32_e32 v58, 0x3f737871, v22
	v_fmac_f32_e32 v27, 0xbf167918, v23
	v_add_f32_e32 v26, v26, v30
	v_fmac_f32_e32 v58, 0x3f167918, v23
	v_fmac_f32_e32 v27, 0x3e9e377a, v26
	;; [unrolled: 1-line block ×3, first 2 shown]
	v_add_f32_e32 v26, v56, v80
	v_fma_f32 v35, -0.5, v26, v52
	v_mov_b32_e32 v31, v35
	v_fmac_f32_e32 v31, 0x3f737871, v23
	v_fmac_f32_e32 v35, 0xbf737871, v23
	;; [unrolled: 1-line block ×4, first 2 shown]
	v_add_f32_e32 v22, v53, v57
	v_add_f32_e32 v22, v22, v67
	;; [unrolled: 1-line block ×5, first 2 shown]
	v_fmac_f32_e32 v59, 0x3e9e377a, v64
	v_fmac_f32_e32 v6, 0x3e9e377a, v64
	v_sub_f32_e32 v26, v66, v56
	v_sub_f32_e32 v30, v76, v80
	v_fma_f32 v64, -0.5, v22, v53
	v_add_f32_e32 v26, v26, v30
	v_sub_f32_e32 v22, v56, v80
	v_mov_b32_e32 v56, v64
	v_fmac_f32_e32 v31, 0x3e9e377a, v26
	v_fmac_f32_e32 v35, 0x3e9e377a, v26
	;; [unrolled: 1-line block ×3, first 2 shown]
	v_sub_f32_e32 v23, v66, v76
	v_sub_f32_e32 v26, v57, v67
	v_sub_f32_e32 v30, v81, v77
	v_fmac_f32_e32 v64, 0xbf737871, v22
	v_fmac_f32_e32 v56, 0x3f167918, v23
	v_add_f32_e32 v26, v26, v30
	v_fmac_f32_e32 v64, 0xbf167918, v23
	v_fmac_f32_e32 v56, 0x3e9e377a, v26
	v_fmac_f32_e32 v64, 0x3e9e377a, v26
	v_add_f32_e32 v26, v57, v81
	v_fmac_f32_e32 v53, -0.5, v26
	v_mov_b32_e32 v66, v53
	v_fmac_f32_e32 v66, 0xbf737871, v23
	v_sub_f32_e32 v26, v67, v57
	v_sub_f32_e32 v30, v77, v81
	v_fmac_f32_e32 v53, 0x3f737871, v23
	v_fmac_f32_e32 v66, 0x3f167918, v22
	v_add_f32_e32 v26, v26, v30
	v_fmac_f32_e32 v53, 0xbf167918, v22
	v_mul_f32_e32 v77, 0xbf167918, v64
	v_fmac_f32_e32 v66, 0x3e9e377a, v26
	v_fmac_f32_e32 v53, 0x3e9e377a, v26
	;; [unrolled: 1-line block ×3, first 2 shown]
	v_mul_f32_e32 v67, 0xbf737871, v66
	v_mul_f32_e32 v76, 0xbf737871, v53
	v_add_f32_e32 v52, v3, v77
	v_mul_f32_e32 v81, 0x3e9e377a, v66
	v_mul_f32_e32 v82, 0xbe9e377a, v53
	v_sub_f32_e32 v66, v3, v77
	v_add_f32_e32 v3, v28, v32
	v_mul_f32_e32 v57, 0xbf167918, v56
	v_fmac_f32_e32 v67, 0x3e9e377a, v31
	v_fmac_f32_e32 v76, 0xbe9e377a, v35
	v_mul_f32_e32 v80, 0x3f167918, v27
	v_fmac_f32_e32 v82, 0x3f737871, v35
	v_mul_f32_e32 v83, 0xbf4f1bbd, v64
	v_fma_f32 v3, -0.5, v3, v8
	v_fmac_f32_e32 v57, 0x3f4f1bbd, v27
	v_add_f32_e32 v30, v59, v67
	v_add_f32_e32 v34, v6, v76
	v_fmac_f32_e32 v80, 0x3f4f1bbd, v56
	v_add_f32_e32 v35, v7, v82
	v_fmac_f32_e32 v83, 0x3f167918, v58
	v_sub_f32_e32 v64, v59, v67
	v_sub_f32_e32 v58, v6, v76
	;; [unrolled: 1-line block ×4, first 2 shown]
	v_mov_b32_e32 v6, v3
	v_add_f32_e32 v22, v2, v54
	v_add_f32_e32 v26, v55, v57
	;; [unrolled: 1-line block ×4, first 2 shown]
	v_sub_f32_e32 v56, v2, v54
	v_sub_f32_e32 v54, v55, v57
	;; [unrolled: 1-line block ×4, first 2 shown]
	v_fmac_f32_e32 v6, 0xbf737871, v7
	v_sub_f32_e32 v74, v29, v33
	v_sub_f32_e32 v75, v24, v28
	;; [unrolled: 1-line block ×3, first 2 shown]
	v_fmac_f32_e32 v3, 0x3f737871, v7
	v_fmac_f32_e32 v6, 0xbf167918, v74
	v_add_f32_e32 v75, v75, v76
	v_fmac_f32_e32 v3, 0x3f167918, v74
	v_fmac_f32_e32 v6, 0x3e9e377a, v75
	v_fmac_f32_e32 v3, 0x3e9e377a, v75
	v_add_f32_e32 v75, v24, v36
	v_add_f32_e32 v2, v8, v24
	v_fma_f32 v8, -0.5, v75, v8
	v_mov_b32_e32 v75, v8
	v_add_f32_e32 v2, v2, v28
	v_fmac_f32_e32 v75, 0x3f737871, v74
	v_fmac_f32_e32 v8, 0xbf737871, v74
	v_add_f32_e32 v74, v29, v33
	v_add_f32_e32 v2, v2, v32
	v_sub_f32_e32 v76, v28, v24
	v_sub_f32_e32 v77, v32, v36
	v_fma_f32 v74, -0.5, v74, v9
	v_add_f32_e32 v2, v2, v36
	v_fmac_f32_e32 v75, 0xbf167918, v7
	v_add_f32_e32 v76, v76, v77
	v_fmac_f32_e32 v8, 0x3f167918, v7
	v_sub_f32_e32 v24, v24, v36
	v_mov_b32_e32 v36, v74
	v_fmac_f32_e32 v75, 0x3e9e377a, v76
	v_fmac_f32_e32 v8, 0x3e9e377a, v76
	;; [unrolled: 1-line block ×3, first 2 shown]
	v_sub_f32_e32 v28, v28, v32
	v_sub_f32_e32 v32, v25, v29
	;; [unrolled: 1-line block ×3, first 2 shown]
	v_fmac_f32_e32 v74, 0xbf737871, v24
	v_fmac_f32_e32 v36, 0x3f167918, v28
	v_add_f32_e32 v32, v32, v76
	v_fmac_f32_e32 v74, 0xbf167918, v28
	v_fmac_f32_e32 v36, 0x3e9e377a, v32
	v_fmac_f32_e32 v74, 0x3e9e377a, v32
	v_add_f32_e32 v32, v25, v37
	v_add_f32_e32 v7, v9, v25
	v_fmac_f32_e32 v9, -0.5, v32
	v_mov_b32_e32 v32, v9
	v_fmac_f32_e32 v32, 0xbf737871, v28
	v_fmac_f32_e32 v9, 0x3f737871, v28
	;; [unrolled: 1-line block ×4, first 2 shown]
	v_add_f32_e32 v24, v0, v10
	v_add_f32_e32 v24, v24, v14
	;; [unrolled: 1-line block ×5, first 2 shown]
	v_sub_f32_e32 v25, v29, v25
	v_sub_f32_e32 v29, v33, v37
	s_waitcnt lgkmcnt(0)
	v_add_f32_e32 v33, v24, v4
	v_add_f32_e32 v24, v14, v18
	;; [unrolled: 1-line block ×4, first 2 shown]
	v_fma_f32 v37, -0.5, v24, v0
	v_fmac_f32_e32 v32, 0x3e9e377a, v25
	v_fmac_f32_e32 v9, 0x3e9e377a, v25
	v_sub_f32_e32 v24, v11, v5
	v_mov_b32_e32 v25, v37
	v_fmac_f32_e32 v25, 0xbf737871, v24
	v_sub_f32_e32 v28, v15, v19
	v_sub_f32_e32 v29, v10, v14
	;; [unrolled: 1-line block ×3, first 2 shown]
	v_fmac_f32_e32 v37, 0x3f737871, v24
	v_fmac_f32_e32 v25, 0xbf167918, v28
	v_add_f32_e32 v29, v29, v76
	v_fmac_f32_e32 v37, 0x3f167918, v28
	v_fmac_f32_e32 v25, 0x3e9e377a, v29
	;; [unrolled: 1-line block ×3, first 2 shown]
	v_add_f32_e32 v29, v10, v4
	v_fma_f32 v29, -0.5, v29, v0
	v_mov_b32_e32 v76, v29
	v_fmac_f32_e32 v76, 0x3f737871, v28
	v_sub_f32_e32 v0, v14, v10
	v_sub_f32_e32 v77, v18, v4
	v_fmac_f32_e32 v29, 0xbf737871, v28
	v_fmac_f32_e32 v76, 0xbf167918, v24
	v_add_f32_e32 v0, v0, v77
	v_fmac_f32_e32 v29, 0x3f167918, v24
	v_fmac_f32_e32 v76, 0x3e9e377a, v0
	v_fmac_f32_e32 v29, 0x3e9e377a, v0
	v_add_f32_e32 v0, v1, v11
	v_add_f32_e32 v0, v0, v15
	v_add_f32_e32 v0, v0, v19
	v_fmac_f32_e32 v81, 0x3f737871, v31
	v_add_f32_e32 v77, v0, v5
	v_add_f32_e32 v0, v15, v19
	;; [unrolled: 1-line block ×4, first 2 shown]
	v_sub_f32_e32 v57, v65, v79
	v_sub_f32_e32 v65, v78, v81
	v_fma_f32 v78, -0.5, v0, v1
	v_sub_f32_e32 v0, v10, v4
	v_mov_b32_e32 v4, v78
	v_fmac_f32_e32 v4, 0x3f737871, v0
	v_sub_f32_e32 v10, v14, v18
	v_sub_f32_e32 v14, v11, v15
	;; [unrolled: 1-line block ×3, first 2 shown]
	v_fmac_f32_e32 v78, 0xbf737871, v0
	v_fmac_f32_e32 v4, 0x3f167918, v10
	v_add_f32_e32 v14, v14, v18
	v_fmac_f32_e32 v78, 0xbf167918, v10
	v_fmac_f32_e32 v4, 0x3e9e377a, v14
	;; [unrolled: 1-line block ×3, first 2 shown]
	v_add_f32_e32 v14, v11, v5
	v_fmac_f32_e32 v1, -0.5, v14
	v_mov_b32_e32 v79, v1
	v_fmac_f32_e32 v79, 0xbf737871, v10
	v_sub_f32_e32 v11, v15, v11
	v_sub_f32_e32 v5, v19, v5
	v_fmac_f32_e32 v79, 0x3f167918, v0
	v_add_f32_e32 v5, v11, v5
	v_fmac_f32_e32 v1, 0x3f737871, v10
	v_fmac_f32_e32 v79, 0x3e9e377a, v5
	v_fmac_f32_e32 v1, 0xbf167918, v0
	v_fmac_f32_e32 v1, 0x3e9e377a, v5
	v_mul_f32_e32 v5, 0xbf167918, v4
	v_mul_f32_e32 v10, 0xbf737871, v79
	;; [unrolled: 1-line block ×4, first 2 shown]
	v_fmac_f32_e32 v5, 0x3f4f1bbd, v25
	v_fmac_f32_e32 v10, 0x3e9e377a, v76
	;; [unrolled: 1-line block ×3, first 2 shown]
	v_mul_f32_e32 v81, 0x3f167918, v25
	v_fmac_f32_e32 v79, 0x3f737871, v76
	v_add_f32_e32 v18, v6, v5
	v_add_f32_e32 v24, v75, v10
	;; [unrolled: 1-line block ×4, first 2 shown]
	v_fmac_f32_e32 v81, 0x3f4f1bbd, v4
	v_add_f32_e32 v25, v32, v79
	v_sub_f32_e32 v4, v6, v5
	v_sub_f32_e32 v6, v75, v10
	;; [unrolled: 1-line block ×5, first 2 shown]
	v_mul_u32_u24_e32 v32, 10, v60
	v_lshlrev_b32_e32 v32, 3, v32
	v_mul_f32_e32 v11, 0xbf737871, v1
	v_mul_f32_e32 v76, 0xbe9e377a, v1
	v_add3_u32 v32, 0, v32, v71
	v_add_f32_e32 v14, v2, v33
	v_fmac_f32_e32 v11, 0xbe9e377a, v29
	v_add_f32_e32 v19, v36, v81
	v_fmac_f32_e32 v76, 0x3f737871, v29
	v_mul_f32_e32 v78, 0xbf4f1bbd, v78
	s_waitcnt lgkmcnt(0)
	; wave barrier
	ds_write2_b64 v32, v[12:13], v[16:17] offset1:1
	ds_write2_b64 v32, v[20:21], v[38:39] offset0:2 offset1:3
	ds_write2_b64 v32, v[40:41], v[44:45] offset0:4 offset1:5
	;; [unrolled: 1-line block ×9, first 2 shown]
	v_add_u32_e32 v12, 0xa00, v32
	v_add_f32_e32 v28, v8, v11
	v_add_f32_e32 v29, v9, v76
	v_fmac_f32_e32 v78, 0x3f167918, v37
	ds_write2_b64 v12, v[14:15], v[18:19] offset1:1
	v_add_u32_e32 v12, 0xa10, v32
	v_add_f32_e32 v1, v74, v78
	v_sub_f32_e32 v2, v2, v33
	ds_write2_b64 v12, v[24:25], v[28:29] offset1:1
	v_add_u32_e32 v12, 0xa20, v32
	v_sub_f32_e32 v5, v36, v81
	ds_write2_b64 v12, v[0:1], v[2:3] offset1:1
	v_add_u32_e32 v12, 0xa30, v32
	v_sub_f32_e32 v8, v8, v11
	v_sub_f32_e32 v9, v9, v76
	;; [unrolled: 1-line block ×3, first 2 shown]
	ds_write2_b64 v12, v[4:5], v[6:7] offset1:1
	v_add_u32_e32 v12, 0xa40, v32
	ds_write2_b64 v12, v[8:9], v[10:11] offset1:1
	s_waitcnt lgkmcnt(0)
	; wave barrier
	s_waitcnt lgkmcnt(0)
	ds_read_b64 v[64:65], v70
	ds_read2_b64 v[56:59], v61 offset0:60 offset1:76
	ds_read2_b64 v[52:55], v61 offset0:92 offset1:120
	;; [unrolled: 1-line block ×6, first 2 shown]
	ds_read_b32 v80, v61 offset:3364
	ds_read_b64 v[66:67], v61 offset:3360
	ds_read2_b64 v[16:19], v61 offset0:16 offset1:32
	ds_read2_b64 v[48:51], v61 offset0:136 offset1:152
	ds_read2_b64 v[32:35], v73 offset1:16
	ds_read2_b64 v[28:31], v73 offset0:120 offset1:136
	ds_read2_b64 v[20:23], v73 offset0:180 offset1:196
                                        ; implicit-def: $vgpr13
	s_and_saveexec_b64 s[2:3], s[0:1]
	s_cbranch_execz .LBB0_19
; %bb.18:
	ds_read2_b64 v[0:3], v61 offset0:48 offset1:108
	ds_read2_b64 v[4:7], v61 offset0:168 offset1:228
	;; [unrolled: 1-line block ×4, first 2 shown]
.LBB0_19:
	s_or_b64 exec, exec, s[2:3]
	s_waitcnt lgkmcnt(5)
	v_add_u32_e32 v67, -10, v60
	v_cmp_gt_u32_e64 s[2:3], 10, v60
	v_cndmask_b32_e64 v67, v67, v60, s[2:3]
	v_mul_i32_i24_e32 v73, 7, v67
	v_mov_b32_e32 v74, 0
	v_lshlrev_b64 v[73:74], 3, v[73:74]
	v_mov_b32_e32 v75, s9
	v_add_co_u32_e64 v93, s[2:3], s8, v73
	v_addc_co_u32_e64 v94, s[2:3], v75, v74, s[2:3]
	v_or_b32_e32 v74, 16, v60
	v_mul_lo_u16_e32 v75, 26, v74
	v_mov_b32_e32 v73, 10
	v_mul_lo_u16_sdwa v76, v75, v73 dst_sel:DWORD dst_unused:UNUSED_PAD src0_sel:BYTE_1 src1_sel:DWORD
	v_sub_u16_e32 v76, v74, v76
	v_mul_lo_u16_e32 v74, 7, v76
	v_mov_b32_e32 v77, 3
	global_load_dwordx4 v[81:84], v[93:94], off
	v_lshlrev_b32_sdwa v95, v77, v74 dst_sel:DWORD dst_unused:UNUSED_PAD src0_sel:DWORD src1_sel:BYTE_0
	global_load_dwordx4 v[85:88], v95, s[8:9]
	v_or_b32_e32 v74, 32, v60
	v_mul_lo_u16_e32 v78, 26, v74
	v_mul_lo_u16_sdwa v79, v78, v73 dst_sel:DWORD dst_unused:UNUSED_PAD src0_sel:BYTE_1 src1_sel:DWORD
	v_sub_u16_e32 v79, v74, v79
	v_mov_b32_e32 v74, 7
	v_mul_u32_u24_sdwa v89, v79, v74 dst_sel:DWORD dst_unused:UNUSED_PAD src0_sel:BYTE_0 src1_sel:DWORD
	v_lshlrev_b32_e32 v96, 3, v89
	global_load_dwordx4 v[89:92], v96, s[8:9]
	v_cmp_lt_u32_e64 s[2:3], 9, v60
	s_movk_i32 s4, 0x50
	s_waitcnt vmcnt(2)
	v_mul_f32_e32 v98, v84, v55
	v_mul_f32_e32 v97, v82, v57
	;; [unrolled: 1-line block ×4, first 2 shown]
	v_fmac_f32_e32 v98, v83, v54
	s_waitcnt vmcnt(1)
	v_mul_f32_e32 v101, v86, v59
	v_mul_f32_e32 v54, v86, v58
	v_fmac_f32_e32 v97, v81, v56
	v_fma_f32 v99, v81, v57, -v82
	v_fma_f32 v100, v83, v55, -v84
	v_fmac_f32_e32 v101, v85, v58
	v_fma_f32 v58, v85, v59, -v54
	global_load_dwordx4 v[54:57], v[93:94], off offset:16
	s_waitcnt lgkmcnt(3)
	v_mul_f32_e32 v81, v48, v88
	v_fma_f32 v85, v49, v87, -v81
	global_load_dwordx4 v[81:84], v[93:94], off offset:32
	v_mul_f32_e32 v59, v49, v88
	v_fmac_f32_e32 v59, v48, v87
	s_waitcnt vmcnt(2)
	v_mul_f32_e32 v86, v53, v90
	v_mul_f32_e32 v48, v52, v90
	v_fmac_f32_e32 v86, v52, v89
	v_fma_f32 v52, v53, v89, -v48
	v_mul_f32_e32 v53, v51, v92
	v_mul_f32_e32 v48, v50, v92
	v_fmac_f32_e32 v53, v50, v91
	v_fma_f32 v87, v51, v91, -v48
	global_load_dwordx4 v[48:51], v95, s[8:9] offset:16
	s_waitcnt vmcnt(2)
	v_mul_f32_e32 v88, v55, v45
	v_mul_f32_e32 v55, v55, v44
	;; [unrolled: 1-line block ×4, first 2 shown]
	v_fmac_f32_e32 v88, v54, v44
	v_fma_f32 v54, v54, v45, -v55
	v_fmac_f32_e32 v89, v56, v38
	v_fma_f32 v55, v56, v39, -v57
	s_waitcnt vmcnt(1)
	v_mul_f32_e32 v56, v82, v41
	v_mul_f32_e32 v38, v82, v40
	;; [unrolled: 1-line block ×3, first 2 shown]
	v_fmac_f32_e32 v56, v81, v40
	v_fma_f32 v81, v81, v41, -v38
	v_fma_f32 v82, v83, v27, -v39
	global_load_dwordx4 v[38:41], v95, s[8:9] offset:32
	v_mul_f32_e32 v57, v84, v27
	v_fmac_f32_e32 v57, v83, v26
	s_waitcnt vmcnt(1)
	v_mul_f32_e32 v83, v47, v49
	v_mul_f32_e32 v26, v46, v49
	v_fmac_f32_e32 v83, v46, v48
	v_fma_f32 v46, v47, v48, -v26
	s_waitcnt lgkmcnt(2)
	v_mul_f32_e32 v26, v32, v51
	v_mul_f32_e32 v47, v33, v51
	v_fma_f32 v48, v33, v50, -v26
	v_fmac_f32_e32 v47, v32, v50
	s_waitcnt vmcnt(0)
	v_mul_f32_e32 v49, v43, v39
	v_mul_f32_e32 v26, v42, v39
	v_fmac_f32_e32 v49, v42, v38
	v_fma_f32 v50, v43, v38, -v26
	global_load_dwordx4 v[42:45], v96, s[8:9] offset:16
	global_load_dwordx2 v[32:33], v[93:94], off offset:48
	global_load_dwordx2 v[38:39], v95, s[8:9] offset:48
	s_waitcnt lgkmcnt(1)
	v_mul_f32_e32 v51, v29, v41
	v_mul_f32_e32 v26, v28, v41
	v_fmac_f32_e32 v51, v28, v40
	v_fma_f32 v40, v29, v40, -v26
	v_sub_f32_e32 v40, v85, v40
	s_waitcnt vmcnt(2)
	v_mul_f32_e32 v26, v36, v43
	v_fma_f32 v90, v37, v42, -v26
	global_load_dwordx4 v[26:29], v96, s[8:9] offset:32
	v_mul_f32_e32 v84, v37, v43
	v_fmac_f32_e32 v84, v36, v42
	global_load_dwordx2 v[36:37], v96, s[8:9] offset:48
	s_waitcnt vmcnt(2) lgkmcnt(0)
	v_mul_f32_e32 v42, v21, v39
	v_fmac_f32_e32 v42, v20, v38
	v_mul_f32_e32 v20, v20, v39
	v_mul_f32_e32 v41, v80, v33
	;; [unrolled: 1-line block ×3, first 2 shown]
	v_fma_f32 v38, v21, v38, -v20
	v_mul_f32_e32 v20, v34, v45
	v_fmac_f32_e32 v41, v32, v66
	v_fma_f32 v32, v80, v32, -v33
	v_fma_f32 v80, v35, v44, -v20
	v_sub_f32_e32 v21, v65, v55
	v_sub_f32_e32 v32, v54, v32
	v_mul_f32_e32 v66, v35, v45
	v_sub_f32_e32 v33, v88, v41
	v_fmac_f32_e32 v66, v34, v44
	v_fma_f32 v34, v88, 2.0, -v33
	v_fma_f32 v35, v54, 2.0, -v32
	v_sub_f32_e32 v45, v58, v50
	v_sub_f32_e32 v38, v46, v38
	v_fma_f32 v46, v46, 2.0, -v38
	v_sub_f32_e32 v42, v83, v42
	s_waitcnt lgkmcnt(0)
	; wave barrier
	s_waitcnt vmcnt(1)
	v_mul_f32_e32 v20, v24, v27
	v_fma_f32 v92, v25, v26, -v20
	v_mul_f32_e32 v20, v30, v29
	v_mul_f32_e32 v91, v25, v27
	v_fma_f32 v94, v31, v28, -v20
	s_waitcnt vmcnt(0)
	v_mul_f32_e32 v20, v22, v37
	v_fmac_f32_e32 v91, v24, v26
	v_mul_f32_e32 v93, v31, v29
	v_mul_f32_e32 v95, v23, v37
	v_fma_f32 v96, v23, v36, -v20
	v_sub_f32_e32 v20, v64, v89
	v_sub_f32_e32 v24, v98, v57
	;; [unrolled: 1-line block ×3, first 2 shown]
	v_fmac_f32_e32 v93, v30, v28
	v_fmac_f32_e32 v95, v22, v36
	v_fma_f32 v22, v64, 2.0, -v20
	v_fma_f32 v26, v98, 2.0, -v24
	v_sub_f32_e32 v28, v97, v56
	v_add_f32_e32 v39, v20, v25
	v_fma_f32 v23, v65, 2.0, -v21
	v_fma_f32 v27, v100, 2.0, -v25
	v_sub_f32_e32 v29, v99, v81
	v_sub_f32_e32 v36, v22, v26
	;; [unrolled: 1-line block ×3, first 2 shown]
	v_fma_f32 v26, v20, 2.0, -v39
	v_add_f32_e32 v43, v28, v32
	v_fma_f32 v30, v97, 2.0, -v28
	v_sub_f32_e32 v37, v23, v27
	v_fma_f32 v27, v21, 2.0, -v41
	v_sub_f32_e32 v44, v29, v33
	v_fma_f32 v28, v28, 2.0, -v43
	v_mov_b32_e32 v24, v26
	v_fma_f32 v31, v99, 2.0, -v29
	v_sub_f32_e32 v34, v30, v34
	v_fma_f32 v29, v29, 2.0, -v44
	v_fmac_f32_e32 v24, 0xbf3504f3, v28
	v_mov_b32_e32 v25, v27
	v_mov_b32_e32 v32, v39
	v_sub_f32_e32 v35, v31, v35
	v_fmac_f32_e32 v25, 0xbf3504f3, v29
	v_fmac_f32_e32 v24, 0x3f3504f3, v29
	v_sub_f32_e32 v29, v37, v34
	v_fmac_f32_e32 v32, 0x3f3504f3, v43
	v_mov_b32_e32 v33, v41
	v_fma_f32 v23, v23, 2.0, -v37
	v_fma_f32 v21, v31, 2.0, -v35
	;; [unrolled: 1-line block ×3, first 2 shown]
	v_fmac_f32_e32 v33, 0x3f3504f3, v44
	v_fmac_f32_e32 v32, 0x3f3504f3, v44
	v_sub_f32_e32 v37, v17, v48
	v_fma_f32 v20, v30, 2.0, -v34
	v_fmac_f32_e32 v25, 0xbf3504f3, v28
	v_add_f32_e32 v28, v36, v35
	v_fmac_f32_e32 v33, 0xbf3504f3, v43
	v_fma_f32 v34, v39, 2.0, -v32
	v_fma_f32 v17, v17, 2.0, -v37
	v_sub_f32_e32 v39, v59, v51
	v_fma_f32 v43, v85, 2.0, -v40
	v_fma_f32 v48, v58, 2.0, -v45
	;; [unrolled: 1-line block ×4, first 2 shown]
	v_sub_f32_e32 v36, v16, v47
	v_sub_f32_e32 v44, v101, v49
	v_sub_f32_e32 v51, v17, v43
	v_sub_f32_e32 v55, v37, v39
	v_sub_f32_e32 v46, v48, v46
	v_fma_f32 v43, v17, 2.0, -v51
	v_add_f32_e32 v54, v36, v40
	v_fma_f32 v56, v37, 2.0, -v55
	v_fma_f32 v17, v48, 2.0, -v46
	v_add_f32_e32 v48, v44, v38
	v_sub_f32_e32 v57, v45, v42
	v_fma_f32 v35, v41, 2.0, -v33
	v_fma_f32 v16, v16, 2.0, -v36
	;; [unrolled: 1-line block ×8, first 2 shown]
	v_mov_b32_e32 v39, v56
	v_sub_f32_e32 v50, v16, v41
	v_mov_b32_e32 v38, v40
	v_fmac_f32_e32 v39, 0xbf3504f3, v44
	v_sub_f32_e32 v49, v47, v49
	v_fmac_f32_e32 v38, 0xbf3504f3, v42
	v_fmac_f32_e32 v39, 0xbf3504f3, v42
	v_add_f32_e32 v42, v50, v46
	v_mov_b32_e32 v46, v54
	v_fma_f32 v41, v16, 2.0, -v50
	v_fma_f32 v16, v47, 2.0, -v49
	v_fmac_f32_e32 v46, 0x3f3504f3, v48
	v_mov_b32_e32 v47, v55
	v_fmac_f32_e32 v47, 0x3f3504f3, v57
	v_fmac_f32_e32 v46, 0x3f3504f3, v57
	v_sub_f32_e32 v17, v43, v17
	v_fmac_f32_e32 v38, 0x3f3504f3, v44
	v_fma_f32 v44, v50, 2.0, -v42
	v_fmac_f32_e32 v47, 0xbf3504f3, v48
	v_fma_f32 v48, v54, 2.0, -v46
	v_sub_f32_e32 v50, v18, v66
	v_sub_f32_e32 v54, v53, v93
	;; [unrolled: 1-line block ×4, first 2 shown]
	v_fma_f32 v37, v43, 2.0, -v17
	v_sub_f32_e32 v43, v51, v49
	v_fma_f32 v18, v18, 2.0, -v50
	v_fma_f32 v53, v53, 2.0, -v54
	;; [unrolled: 1-line block ×5, first 2 shown]
	v_sub_f32_e32 v51, v19, v80
	v_sub_f32_e32 v81, v18, v53
	;; [unrolled: 1-line block ×4, first 2 shown]
	v_fma_f32 v49, v55, 2.0, -v47
	v_sub_f32_e32 v55, v87, v94
	v_sub_f32_e32 v58, v52, v92
	;; [unrolled: 1-line block ×3, first 2 shown]
	v_fma_f32 v53, v18, 2.0, -v81
	v_sub_f32_e32 v84, v51, v54
	v_fma_f32 v18, v59, 2.0, -v66
	v_fma_f32 v36, v41, 2.0, -v16
	;; [unrolled: 1-line block ×7, first 2 shown]
	v_add_f32_e32 v83, v50, v55
	v_fma_f32 v55, v51, 2.0, -v84
	v_sub_f32_e32 v86, v58, v64
	v_sub_f32_e32 v18, v53, v18
	;; [unrolled: 1-line block ×3, first 2 shown]
	v_fma_f32 v54, v50, 2.0, -v83
	v_sub_f32_e32 v80, v52, v80
	v_add_f32_e32 v85, v57, v65
	v_fma_f32 v58, v58, 2.0, -v86
	v_fma_f32 v50, v53, 2.0, -v18
	v_mov_b32_e32 v53, v55
	v_fma_f32 v56, v19, 2.0, -v82
	v_fma_f32 v19, v52, 2.0, -v80
	;; [unrolled: 1-line block ×3, first 2 shown]
	v_mov_b32_e32 v52, v54
	v_fmac_f32_e32 v53, 0xbf3504f3, v58
	v_fmac_f32_e32 v52, 0xbf3504f3, v57
	;; [unrolled: 1-line block ×3, first 2 shown]
	v_sub_f32_e32 v57, v82, v66
	v_mov_b32_e32 v66, 0x50
	v_cndmask_b32_e64 v66, 0, v66, s[2:3]
	v_or_b32_e32 v66, v66, v67
	v_sub_f32_e32 v20, v22, v20
	v_sub_f32_e32 v21, v23, v21
	v_lshlrev_b32_e32 v66, 3, v66
	v_fma_f32 v22, v22, 2.0, -v20
	v_fma_f32 v23, v23, 2.0, -v21
	;; [unrolled: 1-line block ×4, first 2 shown]
	v_add3_u32 v66, 0, v66, v71
	ds_write2_b64 v66, v[22:23], v[26:27] offset1:10
	ds_write2_b64 v66, v[30:31], v[34:35] offset0:20 offset1:30
	ds_write2_b64 v66, v[20:21], v[24:25] offset0:40 offset1:50
	;; [unrolled: 1-line block ×3, first 2 shown]
	v_mul_lo_u16_sdwa v20, v75, s4 dst_sel:DWORD dst_unused:UNUSED_PAD src0_sel:BYTE_1 src1_sel:DWORD
	v_or_b32_e32 v20, v20, v76
	v_lshlrev_b32_sdwa v20, v77, v20 dst_sel:DWORD dst_unused:UNUSED_PAD src0_sel:DWORD src1_sel:BYTE_0
	v_fma_f32 v40, v40, 2.0, -v38
	v_add3_u32 v20, 0, v20, v71
	ds_write2_b64 v20, v[36:37], v[40:41] offset1:10
	ds_write2_b64 v20, v[44:45], v[48:49] offset0:20 offset1:30
	ds_write2_b64 v20, v[16:17], v[38:39] offset0:40 offset1:50
	;; [unrolled: 1-line block ×3, first 2 shown]
	v_mul_u32_u24_sdwa v16, v78, s4 dst_sel:DWORD dst_unused:UNUSED_PAD src0_sel:BYTE_1 src1_sel:DWORD
	v_mov_b32_e32 v64, v83
	v_mov_b32_e32 v65, v84
	v_or_b32_sdwa v16, v16, v79 dst_sel:DWORD dst_unused:UNUSED_PAD src0_sel:DWORD src1_sel:BYTE_0
	v_sub_f32_e32 v19, v56, v19
	v_fmac_f32_e32 v52, 0x3f3504f3, v58
	v_fmac_f32_e32 v64, 0x3f3504f3, v85
	;; [unrolled: 1-line block ×3, first 2 shown]
	v_lshlrev_b32_e32 v16, 3, v16
	v_fma_f32 v51, v56, 2.0, -v19
	v_fma_f32 v54, v54, 2.0, -v52
	;; [unrolled: 1-line block ×3, first 2 shown]
	v_add_f32_e32 v56, v81, v80
	v_fmac_f32_e32 v64, 0x3f3504f3, v86
	v_fmac_f32_e32 v65, 0xbf3504f3, v85
	v_add3_u32 v16, 0, v16, v71
	v_fma_f32 v58, v81, 2.0, -v56
	v_fma_f32 v59, v82, 2.0, -v57
	;; [unrolled: 1-line block ×4, first 2 shown]
	ds_write2_b64 v16, v[50:51], v[54:55] offset1:10
	ds_write2_b64 v16, v[58:59], v[80:81] offset0:20 offset1:30
	ds_write2_b64 v16, v[18:19], v[52:53] offset0:40 offset1:50
	;; [unrolled: 1-line block ×3, first 2 shown]
	s_and_saveexec_b64 s[2:3], s[0:1]
	s_cbranch_execz .LBB0_21
; %bb.20:
	v_or_b32_e32 v16, 48, v60
	v_mul_lo_u16_e32 v30, 26, v16
	v_mul_lo_u16_sdwa v17, v30, v73 dst_sel:DWORD dst_unused:UNUSED_PAD src0_sel:BYTE_1 src1_sel:DWORD
	v_sub_u16_e32 v31, v16, v17
	v_mul_u32_u24_sdwa v16, v31, v74 dst_sel:DWORD dst_unused:UNUSED_PAD src0_sel:BYTE_0 src1_sel:DWORD
	v_lshlrev_b32_e32 v32, 3, v16
	global_load_dwordx4 v[16:19], v32, s[8:9] offset:16
	global_load_dwordx4 v[20:23], v32, s[8:9]
	global_load_dwordx4 v[24:27], v32, s[8:9] offset:32
	global_load_dwordx2 v[28:29], v32, s[8:9] offset:48
	v_mul_u32_u24_sdwa v30, v30, s4 dst_sel:DWORD dst_unused:UNUSED_PAD src0_sel:BYTE_1 src1_sel:DWORD
	s_waitcnt vmcnt(3)
	v_mul_f32_e32 v32, v8, v19
	s_waitcnt vmcnt(2)
	v_mul_f32_e32 v33, v5, v23
	;; [unrolled: 2-line block ×3, first 2 shown]
	v_mul_f32_e32 v35, v2, v21
	v_mul_f32_e32 v21, v3, v21
	;; [unrolled: 1-line block ×7, first 2 shown]
	s_waitcnt vmcnt(0)
	v_mul_f32_e32 v38, v15, v29
	v_mul_f32_e32 v17, v6, v17
	;; [unrolled: 1-line block ×4, first 2 shown]
	v_fmac_f32_e32 v21, v2, v20
	v_fma_f32 v2, v5, v22, -v23
	v_fma_f32 v5, v13, v26, -v27
	v_fmac_f32_e32 v19, v8, v18
	v_fma_f32 v9, v9, v18, -v32
	v_fmac_f32_e32 v33, v4, v22
	v_fmac_f32_e32 v34, v12, v26
	v_fma_f32 v3, v3, v20, -v35
	v_fma_f32 v4, v11, v24, -v36
	v_fmac_f32_e32 v37, v6, v16
	v_fmac_f32_e32 v38, v14, v28
	v_fma_f32 v6, v7, v16, -v17
	v_fma_f32 v7, v15, v28, -v29
	v_fmac_f32_e32 v25, v10, v24
	v_sub_f32_e32 v5, v2, v5
	v_sub_f32_e32 v12, v0, v19
	;; [unrolled: 1-line block ×8, first 2 shown]
	v_add_f32_e32 v16, v12, v5
	v_sub_f32_e32 v13, v8, v9
	v_sub_f32_e32 v14, v4, v10
	v_add_f32_e32 v15, v11, v7
	v_fma_f32 v17, v1, 2.0, -v8
	v_fma_f32 v2, v2, 2.0, -v5
	;; [unrolled: 1-line block ×8, first 2 shown]
	v_mov_b32_e32 v0, v16
	v_sub_f32_e32 v6, v17, v2
	v_sub_f32_e32 v7, v18, v5
	;; [unrolled: 1-line block ×4, first 2 shown]
	v_fma_f32 v21, v8, 2.0, -v13
	v_fma_f32 v24, v12, 2.0, -v16
	v_fmac_f32_e32 v0, 0x3f3504f3, v15
	v_mov_b32_e32 v1, v13
	v_fma_f32 v22, v4, 2.0, -v14
	v_fma_f32 v23, v11, 2.0, -v15
	v_sub_f32_e32 v3, v6, v7
	v_add_f32_e32 v2, v9, v20
	v_mov_b32_e32 v5, v21
	v_mov_b32_e32 v4, v24
	v_fma_f32 v12, v17, 2.0, -v6
	v_fma_f32 v8, v19, 2.0, -v20
	;; [unrolled: 1-line block ×4, first 2 shown]
	v_fmac_f32_e32 v0, 0x3f3504f3, v14
	v_fmac_f32_e32 v1, 0x3f3504f3, v14
	v_fma_f32 v7, v6, 2.0, -v3
	v_fma_f32 v6, v9, 2.0, -v2
	v_fmac_f32_e32 v5, 0xbf3504f3, v22
	v_fmac_f32_e32 v4, 0xbf3504f3, v23
	v_sub_f32_e32 v9, v12, v8
	v_sub_f32_e32 v8, v17, v10
	v_fma_f32 v10, v16, 2.0, -v0
	v_or_b32_sdwa v16, v30, v31 dst_sel:DWORD dst_unused:UNUSED_PAD src0_sel:DWORD src1_sel:BYTE_0
	v_fmac_f32_e32 v1, 0xbf3504f3, v15
	v_fmac_f32_e32 v5, 0xbf3504f3, v23
	;; [unrolled: 1-line block ×3, first 2 shown]
	v_lshlrev_b32_e32 v16, 3, v16
	v_fma_f32 v11, v13, 2.0, -v1
	v_fma_f32 v13, v12, 2.0, -v9
	;; [unrolled: 1-line block ×5, first 2 shown]
	v_add3_u32 v16, 0, v16, v71
	ds_write2_b64 v16, v[12:13], v[14:15] offset1:10
	ds_write2_b64 v16, v[6:7], v[10:11] offset0:20 offset1:30
	ds_write2_b64 v16, v[8:9], v[4:5] offset0:40 offset1:50
	;; [unrolled: 1-line block ×3, first 2 shown]
.LBB0_21:
	s_or_b64 exec, exec, s[2:3]
	v_mul_u32_u24_e32 v0, 5, v60
	v_lshlrev_b32_e32 v59, 3, v0
	s_waitcnt lgkmcnt(0)
	; wave barrier
	s_waitcnt lgkmcnt(0)
	global_load_dwordx4 v[1:4], v59, s[8:9] offset:560
	global_load_dwordx4 v[5:8], v59, s[8:9] offset:576
	global_load_dwordx2 v[57:58], v59, s[8:9] offset:592
	global_load_dwordx4 v[9:12], v59, s[8:9] offset:1200
	global_load_dwordx4 v[13:16], v59, s[8:9] offset:1216
	global_load_dwordx2 v[105:106], v59, s[8:9] offset:1232
	global_load_dwordx4 v[17:20], v59, s[8:9] offset:1840
	global_load_dwordx4 v[21:24], v59, s[8:9] offset:1856
	ds_read2_b64 v[25:28], v61 offset0:80 offset1:96
	ds_read2_b64 v[29:32], v61 offset0:144 offset1:160
	global_load_dwordx2 v[107:108], v59, s[8:9] offset:1872
	ds_read2_b64 v[33:36], v61 offset0:16 offset1:32
	ds_read2_b64 v[37:40], v61 offset0:176 offset1:192
	global_load_dwordx4 v[41:44], v59, s[8:9] offset:2480
	ds_read2_b64 v[45:48], v61 offset0:112 offset1:128
	ds_read2_b64 v[49:52], v61 offset0:48 offset1:64
	;; [unrolled: 1-line block ×3, first 2 shown]
	ds_read_b64 v[109:110], v70
	ds_read_b64 v[111:112], v61 offset:3712
	global_load_dwordx2 v[113:114], v59, s[8:9] offset:2512
	global_load_dwordx4 v[64:67], v59, s[8:9] offset:2496
	v_add_u32_e32 v71, 0x400, v61
	v_add_u32_e32 v59, 0xa00, v59
	;; [unrolled: 1-line block ×3, first 2 shown]
	v_lshl_add_u32 v0, v69, 3, v72
	ds_read2_b64 v[69:72], v71 offset0:112 offset1:128
	ds_read2_b64 v[73:76], v117 offset0:48 offset1:64
	;; [unrolled: 1-line block ×7, first 2 shown]
	global_load_dwordx2 v[115:116], v59, s[8:9] offset:592
	global_load_dwordx4 v[97:100], v59, s[8:9] offset:576
	global_load_dwordx4 v[101:104], v59, s[8:9] offset:560
	s_waitcnt lgkmcnt(0)
	; wave barrier
	s_waitcnt vmcnt(14) lgkmcnt(0)
	v_mul_f32_e32 v59, v26, v2
	v_mul_f32_e32 v2, v25, v2
	;; [unrolled: 1-line block ×4, first 2 shown]
	s_waitcnt vmcnt(13)
	v_mul_f32_e32 v119, v70, v6
	v_mul_f32_e32 v6, v69, v6
	;; [unrolled: 1-line block ×4, first 2 shown]
	v_fmac_f32_e32 v59, v25, v1
	v_fma_f32 v25, v26, v1, -v2
	v_fmac_f32_e32 v118, v31, v3
	v_fma_f32 v1, v32, v3, -v4
	s_waitcnt vmcnt(11)
	v_mul_f32_e32 v26, v28, v10
	v_mul_f32_e32 v3, v27, v10
	v_fmac_f32_e32 v119, v69, v5
	v_fma_f32 v4, v70, v5, -v6
	v_fmac_f32_e32 v120, v75, v7
	v_fma_f32 v5, v76, v7, -v8
	s_waitcnt vmcnt(10)
	v_mul_f32_e32 v32, v72, v14
	v_mul_f32_e32 v7, v71, v14
	;; [unrolled: 1-line block ×3, first 2 shown]
	v_fmac_f32_e32 v26, v27, v9
	v_fma_f32 v27, v28, v9, -v3
	v_mul_f32_e32 v3, v81, v16
	s_waitcnt vmcnt(8)
	v_mul_f32_e32 v28, v40, v20
	v_fmac_f32_e32 v14, v81, v15
	v_fma_f32 v15, v82, v15, -v3
	v_mul_f32_e32 v3, v39, v20
	v_mul_f32_e32 v121, v78, v58
	;; [unrolled: 1-line block ×4, first 2 shown]
	v_fmac_f32_e32 v28, v39, v19
	v_fma_f32 v39, v40, v19, -v3
	s_waitcnt vmcnt(7)
	v_mul_f32_e32 v3, v85, v22
	v_mul_f32_e32 v9, v45, v18
	v_fmac_f32_e32 v58, v45, v17
	v_fma_f32 v45, v86, v21, -v3
	v_mul_f32_e32 v3, v83, v24
	v_fmac_f32_e32 v121, v77, v57
	v_fma_f32 v2, v78, v57, -v2
	v_fma_f32 v57, v84, v23, -v3
	s_waitcnt vmcnt(6)
	v_mul_f32_e32 v3, v89, v108
	v_fmac_f32_e32 v32, v71, v13
	v_fma_f32 v70, v90, v107, -v3
	s_waitcnt vmcnt(5)
	v_mul_f32_e32 v71, v48, v42
	v_mul_f32_e32 v3, v47, v42
	v_fmac_f32_e32 v71, v47, v41
	v_fma_f32 v42, v48, v41, -v3
	v_mul_f32_e32 v41, v54, v44
	v_mul_f32_e32 v3, v53, v44
	v_fmac_f32_e32 v41, v53, v43
	v_fma_f32 v43, v54, v43, -v3
	s_waitcnt vmcnt(3)
	v_mul_f32_e32 v3, v87, v65
	v_fma_f32 v47, v88, v64, -v3
	v_mul_f32_e32 v3, v93, v67
	v_mul_f32_e32 v44, v88, v65
	v_fma_f32 v53, v94, v66, -v3
	v_mul_f32_e32 v3, v91, v114
	v_fmac_f32_e32 v44, v87, v64
	v_mul_f32_e32 v48, v94, v67
	v_fma_f32 v64, v92, v113, -v3
	s_waitcnt vmcnt(0)
	v_mul_f32_e32 v3, v29, v102
	v_fmac_f32_e32 v48, v93, v66
	v_fma_f32 v66, v30, v101, -v3
	v_mul_f32_e32 v67, v56, v104
	v_mul_f32_e32 v3, v55, v104
	v_fmac_f32_e32 v67, v55, v103
	v_fma_f32 v55, v56, v103, -v3
	v_mul_f32_e32 v3, v73, v98
	v_fma_f32 v13, v72, v13, -v7
	v_fma_f32 v72, v74, v97, -v3
	v_mul_f32_e32 v3, v95, v100
	v_mul_f32_e32 v56, v74, v98
	v_fma_f32 v74, v96, v99, -v3
	v_mul_f32_e32 v3, v111, v116
	v_fma_f32 v76, v112, v115, -v3
	v_add_f32_e32 v3, v109, v118
	v_mul_f32_e32 v31, v38, v12
	v_mul_f32_e32 v8, v79, v106
	v_add_f32_e32 v7, v3, v120
	v_add_f32_e32 v3, v118, v120
	v_mul_f32_e32 v6, v37, v12
	v_fmac_f32_e32 v31, v37, v11
	v_fma_f32 v37, v80, v105, -v8
	v_fma_f32 v8, -0.5, v3, v109
	v_fma_f32 v18, v38, v11, -v6
	v_fma_f32 v38, v46, v17, -v9
	v_sub_f32_e32 v3, v1, v5
	v_mov_b32_e32 v9, v8
	v_fmac_f32_e32 v9, 0xbf5db3d7, v3
	v_fmac_f32_e32 v8, 0x3f5db3d7, v3
	v_add_f32_e32 v3, v110, v1
	v_add_f32_e32 v1, v1, v5
	v_fmac_f32_e32 v110, -0.5, v1
	v_sub_f32_e32 v1, v118, v120
	v_mov_b32_e32 v12, v110
	v_fmac_f32_e32 v12, 0x3f5db3d7, v1
	v_fmac_f32_e32 v110, 0xbf5db3d7, v1
	v_add_f32_e32 v1, v59, v119
	v_add_f32_e32 v11, v1, v121
	;; [unrolled: 1-line block ×3, first 2 shown]
	v_fmac_f32_e32 v59, -0.5, v1
	v_sub_f32_e32 v1, v4, v2
	v_mov_b32_e32 v6, v59
	v_fmac_f32_e32 v6, 0xbf5db3d7, v1
	v_fmac_f32_e32 v59, 0x3f5db3d7, v1
	v_add_f32_e32 v1, v25, v4
	v_add_f32_e32 v17, v1, v2
	;; [unrolled: 1-line block ×3, first 2 shown]
	v_fmac_f32_e32 v25, -0.5, v1
	v_sub_f32_e32 v1, v119, v121
	v_mov_b32_e32 v4, v25
	v_fmac_f32_e32 v25, 0xbf5db3d7, v1
	v_fmac_f32_e32 v4, 0x3f5db3d7, v1
	v_mul_f32_e32 v20, 0xbf5db3d7, v25
	v_add_f32_e32 v10, v3, v5
	v_mul_f32_e32 v19, 0xbf5db3d7, v4
	v_fmac_f32_e32 v20, -0.5, v59
	v_mul_f32_e32 v40, v86, v22
	v_add_f32_e32 v1, v7, v11
	v_fmac_f32_e32 v19, 0.5, v6
	v_add_f32_e32 v5, v8, v20
	v_add_f32_e32 v2, v10, v17
	v_sub_f32_e32 v7, v7, v11
	v_sub_f32_e32 v11, v8, v20
	;; [unrolled: 1-line block ×3, first 2 shown]
	v_add_f32_e32 v17, v33, v31
	v_fmac_f32_e32 v40, v85, v21
	v_add_f32_e32 v3, v9, v19
	v_mul_f32_e32 v21, 0.5, v4
	v_sub_f32_e32 v9, v9, v19
	v_add_f32_e32 v19, v17, v14
	v_add_f32_e32 v17, v31, v14
	v_fmac_f32_e32 v21, 0x3f5db3d7, v6
	v_fma_f32 v20, -0.5, v17, v33
	v_add_f32_e32 v4, v12, v21
	v_mul_f32_e32 v22, -0.5, v25
	v_sub_f32_e32 v10, v12, v21
	v_sub_f32_e32 v17, v18, v15
	v_mov_b32_e32 v21, v20
	v_fmac_f32_e32 v22, 0x3f5db3d7, v59
	v_fmac_f32_e32 v21, 0xbf5db3d7, v17
	;; [unrolled: 1-line block ×3, first 2 shown]
	v_add_f32_e32 v17, v34, v18
	v_add_f32_e32 v6, v110, v22
	v_sub_f32_e32 v12, v110, v22
	v_add_f32_e32 v22, v17, v15
	v_add_f32_e32 v15, v18, v15
	v_mul_f32_e32 v46, v84, v24
	v_fma_f32 v24, -0.5, v15, v34
	v_mul_f32_e32 v16, v80, v106
	v_sub_f32_e32 v14, v31, v14
	v_mov_b32_e32 v25, v24
	v_fmac_f32_e32 v16, v79, v105
	v_fmac_f32_e32 v25, 0x3f5db3d7, v14
	;; [unrolled: 1-line block ×3, first 2 shown]
	v_add_f32_e32 v14, v26, v32
	v_fmac_f32_e32 v46, v83, v23
	v_add_f32_e32 v23, v14, v16
	v_add_f32_e32 v14, v32, v16
	v_fmac_f32_e32 v26, -0.5, v14
	v_sub_f32_e32 v14, v13, v37
	v_mov_b32_e32 v18, v26
	v_fmac_f32_e32 v18, 0xbf5db3d7, v14
	v_fmac_f32_e32 v26, 0x3f5db3d7, v14
	v_add_f32_e32 v14, v27, v13
	v_add_f32_e32 v13, v13, v37
	v_fmac_f32_e32 v27, -0.5, v13
	v_sub_f32_e32 v13, v32, v16
	v_mov_b32_e32 v16, v27
	v_fmac_f32_e32 v16, 0x3f5db3d7, v13
	v_fmac_f32_e32 v27, 0xbf5db3d7, v13
	v_mul_f32_e32 v65, v30, v102
	v_mul_f32_e32 v31, 0xbf5db3d7, v27
	v_mul_f32_e32 v32, 0.5, v16
	v_fmac_f32_e32 v65, v29, v101
	v_add_f32_e32 v29, v14, v37
	v_fmac_f32_e32 v31, -0.5, v26
	v_fmac_f32_e32 v32, 0x3f5db3d7, v18
	v_add_f32_e32 v13, v19, v23
	v_mul_f32_e32 v30, 0xbf5db3d7, v16
	v_add_f32_e32 v17, v20, v31
	v_add_f32_e32 v14, v22, v29
	;; [unrolled: 1-line block ×3, first 2 shown]
	v_sub_f32_e32 v19, v19, v23
	v_sub_f32_e32 v23, v20, v31
	;; [unrolled: 1-line block ×4, first 2 shown]
	v_add_f32_e32 v25, v35, v28
	v_add_f32_e32 v31, v25, v46
	;; [unrolled: 1-line block ×3, first 2 shown]
	v_fma_f32 v32, -0.5, v25, v35
	v_sub_f32_e32 v25, v39, v57
	v_mov_b32_e32 v33, v32
	v_fmac_f32_e32 v33, 0xbf5db3d7, v25
	v_fmac_f32_e32 v32, 0x3f5db3d7, v25
	v_add_f32_e32 v25, v36, v39
	v_add_f32_e32 v34, v25, v57
	;; [unrolled: 1-line block ×3, first 2 shown]
	v_fmac_f32_e32 v36, -0.5, v25
	v_mul_f32_e32 v69, v90, v108
	v_sub_f32_e32 v25, v28, v46
	v_mov_b32_e32 v37, v36
	v_fmac_f32_e32 v69, v89, v107
	v_fmac_f32_e32 v37, 0x3f5db3d7, v25
	;; [unrolled: 1-line block ×3, first 2 shown]
	v_add_f32_e32 v25, v58, v40
	v_add_f32_e32 v35, v25, v69
	;; [unrolled: 1-line block ×3, first 2 shown]
	v_fmac_f32_e32 v58, -0.5, v25
	v_sub_f32_e32 v25, v45, v70
	v_mov_b32_e32 v28, v58
	v_fmac_f32_e32 v28, 0xbf5db3d7, v25
	v_fmac_f32_e32 v58, 0x3f5db3d7, v25
	v_add_f32_e32 v25, v38, v45
	v_add_f32_e32 v39, v25, v70
	v_add_f32_e32 v25, v45, v70
	v_fmac_f32_e32 v30, 0.5, v18
	v_fmac_f32_e32 v38, -0.5, v25
	v_add_f32_e32 v15, v21, v30
	v_sub_f32_e32 v21, v21, v30
	v_sub_f32_e32 v25, v40, v69
	v_mov_b32_e32 v30, v38
	v_fmac_f32_e32 v30, 0x3f5db3d7, v25
	v_fmac_f32_e32 v38, 0xbf5db3d7, v25
	v_mul_f32_e32 v45, 0xbf5db3d7, v38
	v_mul_f32_e32 v46, 0.5, v30
	v_mul_f32_e32 v27, -0.5, v27
	v_mul_f32_e32 v40, 0xbf5db3d7, v30
	v_fmac_f32_e32 v45, -0.5, v58
	v_fmac_f32_e32 v46, 0x3f5db3d7, v28
	v_fmac_f32_e32 v27, 0x3f5db3d7, v26
	v_add_f32_e32 v25, v31, v35
	v_fmac_f32_e32 v40, 0.5, v28
	v_add_f32_e32 v29, v32, v45
	v_add_f32_e32 v26, v34, v39
	;; [unrolled: 1-line block ×3, first 2 shown]
	v_sub_f32_e32 v31, v31, v35
	v_sub_f32_e32 v35, v32, v45
	;; [unrolled: 1-line block ×4, first 2 shown]
	v_add_f32_e32 v37, v49, v41
	v_add_f32_e32 v45, v37, v48
	;; [unrolled: 1-line block ×3, first 2 shown]
	v_fma_f32 v46, -0.5, v37, v49
	v_sub_f32_e32 v37, v43, v53
	v_mov_b32_e32 v49, v46
	v_fmac_f32_e32 v49, 0xbf5db3d7, v37
	v_fmac_f32_e32 v46, 0x3f5db3d7, v37
	v_add_f32_e32 v37, v50, v43
	v_add_f32_e32 v57, v37, v53
	;; [unrolled: 1-line block ×3, first 2 shown]
	v_fma_f32 v50, -0.5, v37, v50
	v_mul_f32_e32 v54, v92, v114
	v_sub_f32_e32 v37, v41, v48
	v_mov_b32_e32 v48, v50
	v_fmac_f32_e32 v54, v91, v113
	v_fmac_f32_e32 v48, 0x3f5db3d7, v37
	;; [unrolled: 1-line block ×3, first 2 shown]
	v_add_f32_e32 v37, v71, v44
	v_add_f32_e32 v43, v37, v54
	;; [unrolled: 1-line block ×3, first 2 shown]
	v_fmac_f32_e32 v71, -0.5, v37
	v_add_f32_e32 v18, v24, v27
	v_sub_f32_e32 v24, v24, v27
	v_add_f32_e32 v27, v33, v40
	v_sub_f32_e32 v33, v33, v40
	v_sub_f32_e32 v37, v47, v64
	v_mov_b32_e32 v40, v71
	v_fmac_f32_e32 v40, 0xbf5db3d7, v37
	v_fmac_f32_e32 v71, 0x3f5db3d7, v37
	v_add_f32_e32 v37, v42, v47
	v_add_f32_e32 v53, v37, v64
	;; [unrolled: 1-line block ×3, first 2 shown]
	v_fmac_f32_e32 v42, -0.5, v37
	v_sub_f32_e32 v37, v44, v54
	v_mov_b32_e32 v44, v42
	v_fmac_f32_e32 v44, 0x3f5db3d7, v37
	v_mul_f32_e32 v47, 0xbf5db3d7, v44
	v_fmac_f32_e32 v56, v73, v97
	v_mul_f32_e32 v73, v96, v100
	v_mul_f32_e32 v38, -0.5, v38
	v_fmac_f32_e32 v47, 0.5, v40
	v_fmac_f32_e32 v73, v95, v99
	v_fmac_f32_e32 v38, 0x3f5db3d7, v58
	;; [unrolled: 1-line block ×3, first 2 shown]
	v_add_f32_e32 v37, v45, v43
	v_add_f32_e32 v39, v49, v47
	v_sub_f32_e32 v43, v45, v43
	v_sub_f32_e32 v45, v49, v47
	v_add_f32_e32 v49, v51, v67
	v_add_f32_e32 v30, v36, v38
	v_sub_f32_e32 v36, v36, v38
	v_mul_f32_e32 v54, 0xbf5db3d7, v42
	v_add_f32_e32 v38, v57, v53
	v_mul_f32_e32 v58, 0.5, v44
	v_sub_f32_e32 v44, v57, v53
	v_add_f32_e32 v57, v49, v73
	v_add_f32_e32 v49, v67, v73
	v_fmac_f32_e32 v54, -0.5, v71
	v_fmac_f32_e32 v58, 0x3f5db3d7, v40
	v_fma_f32 v51, -0.5, v49, v51
	v_add_f32_e32 v41, v46, v54
	v_add_f32_e32 v40, v48, v58
	v_mul_f32_e32 v59, -0.5, v42
	v_sub_f32_e32 v47, v46, v54
	v_sub_f32_e32 v46, v48, v58
	;; [unrolled: 1-line block ×3, first 2 shown]
	v_mov_b32_e32 v58, v51
	v_fmac_f32_e32 v59, 0x3f5db3d7, v71
	v_fmac_f32_e32 v58, 0xbf5db3d7, v49
	;; [unrolled: 1-line block ×3, first 2 shown]
	v_add_f32_e32 v49, v52, v55
	v_add_f32_e32 v42, v50, v59
	v_sub_f32_e32 v48, v50, v59
	v_add_f32_e32 v59, v49, v74
	v_add_f32_e32 v49, v55, v74
	v_fmac_f32_e32 v52, -0.5, v49
	v_mul_f32_e32 v75, v112, v116
	v_sub_f32_e32 v49, v67, v73
	v_mov_b32_e32 v67, v52
	v_fmac_f32_e32 v75, v111, v115
	v_fmac_f32_e32 v67, 0x3f5db3d7, v49
	;; [unrolled: 1-line block ×3, first 2 shown]
	v_add_f32_e32 v49, v65, v56
	v_add_f32_e32 v64, v49, v75
	;; [unrolled: 1-line block ×3, first 2 shown]
	v_fmac_f32_e32 v65, -0.5, v49
	v_sub_f32_e32 v49, v72, v76
	v_mov_b32_e32 v54, v65
	v_fmac_f32_e32 v54, 0xbf5db3d7, v49
	v_fmac_f32_e32 v65, 0x3f5db3d7, v49
	v_add_f32_e32 v49, v66, v72
	v_add_f32_e32 v69, v49, v76
	;; [unrolled: 1-line block ×3, first 2 shown]
	v_fmac_f32_e32 v66, -0.5, v49
	v_sub_f32_e32 v49, v56, v75
	v_mov_b32_e32 v56, v66
	v_fmac_f32_e32 v56, 0x3f5db3d7, v49
	v_fmac_f32_e32 v66, 0xbf5db3d7, v49
	v_mul_f32_e32 v70, 0xbf5db3d7, v56
	v_mul_f32_e32 v71, 0xbf5db3d7, v66
	v_mul_f32_e32 v72, 0.5, v56
	v_mul_f32_e32 v66, -0.5, v66
	v_fmac_f32_e32 v70, 0.5, v54
	v_fmac_f32_e32 v71, -0.5, v65
	v_fmac_f32_e32 v72, 0x3f5db3d7, v54
	v_fmac_f32_e32 v66, 0x3f5db3d7, v65
	ds_write2_b64 v61, v[5:6], v[7:8] offset0:160 offset1:240
	ds_write2_b64 v117, v[9:10], v[11:12] offset0:64 offset1:144
	ds_write2_b64 v61, v[1:2], v[13:14] offset1:16
	ds_write2_b64 v0, v[15:16], v[27:28] offset0:96 offset1:112
	ds_write2_b64 v0, v[17:18], v[29:30] offset0:176 offset1:192
	v_add_u32_e32 v1, 0x800, v0
	v_add_f32_e32 v49, v57, v64
	v_add_f32_e32 v53, v58, v70
	;; [unrolled: 1-line block ×6, first 2 shown]
	v_sub_f32_e32 v57, v57, v64
	v_sub_f32_e32 v64, v58, v70
	;; [unrolled: 1-line block ×6, first 2 shown]
	ds_write2_b64 v1, v[19:20], v[31:32] offset1:16
	ds_write2_b64 v1, v[21:22], v[33:34] offset0:80 offset1:96
	ds_write2_b64 v1, v[23:24], v[35:36] offset0:160 offset1:176
	;; [unrolled: 1-line block ×9, first 2 shown]
	s_waitcnt lgkmcnt(0)
	; wave barrier
	s_waitcnt lgkmcnt(0)
	s_and_saveexec_b64 s[0:1], vcc
	s_cbranch_execz .LBB0_23
; %bb.22:
	v_lshl_add_u32 v6, v60, 3, v68
	v_mov_b32_e32 v61, 0
	ds_read2_b64 v[0:3], v6 offset1:16
	v_mov_b32_e32 v4, s13
	v_add_co_u32_e32 v7, vcc, s12, v62
	v_addc_co_u32_e32 v8, vcc, v4, v63, vcc
	v_lshlrev_b64 v[4:5], 3, v[60:61]
	v_add_co_u32_e32 v4, vcc, v7, v4
	v_addc_co_u32_e32 v5, vcc, v8, v5, vcc
	s_waitcnt lgkmcnt(0)
	global_store_dwordx2 v[4:5], v[0:1], off
	v_add_u32_e32 v0, 16, v60
	v_mov_b32_e32 v1, v61
	v_lshlrev_b64 v[0:1], 3, v[0:1]
	v_add_u32_e32 v4, 32, v60
	v_add_co_u32_e32 v0, vcc, v7, v0
	v_addc_co_u32_e32 v1, vcc, v8, v1, vcc
	global_store_dwordx2 v[0:1], v[2:3], off
	v_mov_b32_e32 v5, v61
	ds_read2_b64 v[0:3], v6 offset0:32 offset1:48
	v_lshlrev_b64 v[4:5], 3, v[4:5]
	v_add_co_u32_e32 v4, vcc, v7, v4
	v_addc_co_u32_e32 v5, vcc, v8, v5, vcc
	s_waitcnt lgkmcnt(0)
	global_store_dwordx2 v[4:5], v[0:1], off
	v_add_u32_e32 v0, 48, v60
	v_mov_b32_e32 v1, v61
	v_lshlrev_b64 v[0:1], 3, v[0:1]
	v_add_u32_e32 v4, 64, v60
	v_add_co_u32_e32 v0, vcc, v7, v0
	v_addc_co_u32_e32 v1, vcc, v8, v1, vcc
	global_store_dwordx2 v[0:1], v[2:3], off
	v_mov_b32_e32 v5, v61
	ds_read2_b64 v[0:3], v6 offset0:64 offset1:80
	;; [unrolled: 14-line block ×7, first 2 shown]
	v_lshlrev_b64 v[4:5], 3, v[4:5]
	v_add_u32_e32 v6, 0x800, v6
	v_add_co_u32_e32 v4, vcc, v7, v4
	v_addc_co_u32_e32 v5, vcc, v8, v5, vcc
	s_waitcnt lgkmcnt(0)
	global_store_dwordx2 v[4:5], v[0:1], off
	v_add_u32_e32 v0, 0xf0, v60
	v_mov_b32_e32 v1, v61
	v_lshlrev_b64 v[0:1], 3, v[0:1]
	v_add_u32_e32 v4, 0x100, v60
	v_add_co_u32_e32 v0, vcc, v7, v0
	v_addc_co_u32_e32 v1, vcc, v8, v1, vcc
	global_store_dwordx2 v[0:1], v[2:3], off
	v_mov_b32_e32 v5, v61
	ds_read2_b64 v[0:3], v6 offset1:16
	v_lshlrev_b64 v[4:5], 3, v[4:5]
	v_add_co_u32_e32 v4, vcc, v7, v4
	v_addc_co_u32_e32 v5, vcc, v8, v5, vcc
	s_waitcnt lgkmcnt(0)
	global_store_dwordx2 v[4:5], v[0:1], off
	v_add_u32_e32 v0, 0x110, v60
	v_mov_b32_e32 v1, v61
	v_lshlrev_b64 v[0:1], 3, v[0:1]
	v_add_u32_e32 v4, 0x120, v60
	v_add_co_u32_e32 v0, vcc, v7, v0
	v_addc_co_u32_e32 v1, vcc, v8, v1, vcc
	global_store_dwordx2 v[0:1], v[2:3], off
	v_mov_b32_e32 v5, v61
	ds_read2_b64 v[0:3], v6 offset0:32 offset1:48
	v_lshlrev_b64 v[4:5], 3, v[4:5]
	v_add_co_u32_e32 v4, vcc, v7, v4
	v_addc_co_u32_e32 v5, vcc, v8, v5, vcc
	s_waitcnt lgkmcnt(0)
	global_store_dwordx2 v[4:5], v[0:1], off
	v_add_u32_e32 v0, 0x130, v60
	v_mov_b32_e32 v1, v61
	v_lshlrev_b64 v[0:1], 3, v[0:1]
	v_add_u32_e32 v4, 0x140, v60
	v_add_co_u32_e32 v0, vcc, v7, v0
	v_addc_co_u32_e32 v1, vcc, v8, v1, vcc
	global_store_dwordx2 v[0:1], v[2:3], off
	v_mov_b32_e32 v5, v61
	ds_read2_b64 v[0:3], v6 offset0:64 offset1:80
	;; [unrolled: 14-line block ×6, first 2 shown]
	v_lshlrev_b64 v[4:5], 3, v[4:5]
	v_add_u32_e32 v60, 0x1d0, v60
	v_add_co_u32_e32 v4, vcc, v7, v4
	v_addc_co_u32_e32 v5, vcc, v8, v5, vcc
	s_waitcnt lgkmcnt(0)
	global_store_dwordx2 v[4:5], v[0:1], off
	v_lshlrev_b64 v[0:1], 3, v[60:61]
	v_add_co_u32_e32 v0, vcc, v7, v0
	v_addc_co_u32_e32 v1, vcc, v8, v1, vcc
	global_store_dwordx2 v[0:1], v[2:3], off
.LBB0_23:
	s_endpgm
	.section	.rodata,"a",@progbits
	.p2align	6, 0x0
	.amdhsa_kernel fft_rtc_back_len480_factors_10_8_6_wgs_64_tpt_16_halfLds_sp_ip_CI_unitstride_sbrr_C2R_dirReg
		.amdhsa_group_segment_fixed_size 0
		.amdhsa_private_segment_fixed_size 0
		.amdhsa_kernarg_size 88
		.amdhsa_user_sgpr_count 6
		.amdhsa_user_sgpr_private_segment_buffer 1
		.amdhsa_user_sgpr_dispatch_ptr 0
		.amdhsa_user_sgpr_queue_ptr 0
		.amdhsa_user_sgpr_kernarg_segment_ptr 1
		.amdhsa_user_sgpr_dispatch_id 0
		.amdhsa_user_sgpr_flat_scratch_init 0
		.amdhsa_user_sgpr_private_segment_size 0
		.amdhsa_uses_dynamic_stack 0
		.amdhsa_system_sgpr_private_segment_wavefront_offset 0
		.amdhsa_system_sgpr_workgroup_id_x 1
		.amdhsa_system_sgpr_workgroup_id_y 0
		.amdhsa_system_sgpr_workgroup_id_z 0
		.amdhsa_system_sgpr_workgroup_info 0
		.amdhsa_system_vgpr_workitem_id 0
		.amdhsa_next_free_vgpr 122
		.amdhsa_next_free_sgpr 22
		.amdhsa_reserve_vcc 1
		.amdhsa_reserve_flat_scratch 0
		.amdhsa_float_round_mode_32 0
		.amdhsa_float_round_mode_16_64 0
		.amdhsa_float_denorm_mode_32 3
		.amdhsa_float_denorm_mode_16_64 3
		.amdhsa_dx10_clamp 1
		.amdhsa_ieee_mode 1
		.amdhsa_fp16_overflow 0
		.amdhsa_exception_fp_ieee_invalid_op 0
		.amdhsa_exception_fp_denorm_src 0
		.amdhsa_exception_fp_ieee_div_zero 0
		.amdhsa_exception_fp_ieee_overflow 0
		.amdhsa_exception_fp_ieee_underflow 0
		.amdhsa_exception_fp_ieee_inexact 0
		.amdhsa_exception_int_div_zero 0
	.end_amdhsa_kernel
	.text
.Lfunc_end0:
	.size	fft_rtc_back_len480_factors_10_8_6_wgs_64_tpt_16_halfLds_sp_ip_CI_unitstride_sbrr_C2R_dirReg, .Lfunc_end0-fft_rtc_back_len480_factors_10_8_6_wgs_64_tpt_16_halfLds_sp_ip_CI_unitstride_sbrr_C2R_dirReg
                                        ; -- End function
	.section	.AMDGPU.csdata,"",@progbits
; Kernel info:
; codeLenInByte = 12972
; NumSgprs: 26
; NumVgprs: 122
; ScratchSize: 0
; MemoryBound: 0
; FloatMode: 240
; IeeeMode: 1
; LDSByteSize: 0 bytes/workgroup (compile time only)
; SGPRBlocks: 3
; VGPRBlocks: 30
; NumSGPRsForWavesPerEU: 26
; NumVGPRsForWavesPerEU: 122
; Occupancy: 2
; WaveLimiterHint : 1
; COMPUTE_PGM_RSRC2:SCRATCH_EN: 0
; COMPUTE_PGM_RSRC2:USER_SGPR: 6
; COMPUTE_PGM_RSRC2:TRAP_HANDLER: 0
; COMPUTE_PGM_RSRC2:TGID_X_EN: 1
; COMPUTE_PGM_RSRC2:TGID_Y_EN: 0
; COMPUTE_PGM_RSRC2:TGID_Z_EN: 0
; COMPUTE_PGM_RSRC2:TIDIG_COMP_CNT: 0
	.type	__hip_cuid_fe405c32223dec02,@object ; @__hip_cuid_fe405c32223dec02
	.section	.bss,"aw",@nobits
	.globl	__hip_cuid_fe405c32223dec02
__hip_cuid_fe405c32223dec02:
	.byte	0                               ; 0x0
	.size	__hip_cuid_fe405c32223dec02, 1

	.ident	"AMD clang version 19.0.0git (https://github.com/RadeonOpenCompute/llvm-project roc-6.4.0 25133 c7fe45cf4b819c5991fe208aaa96edf142730f1d)"
	.section	".note.GNU-stack","",@progbits
	.addrsig
	.addrsig_sym __hip_cuid_fe405c32223dec02
	.amdgpu_metadata
---
amdhsa.kernels:
  - .args:
      - .actual_access:  read_only
        .address_space:  global
        .offset:         0
        .size:           8
        .value_kind:     global_buffer
      - .offset:         8
        .size:           8
        .value_kind:     by_value
      - .actual_access:  read_only
        .address_space:  global
        .offset:         16
        .size:           8
        .value_kind:     global_buffer
      - .actual_access:  read_only
        .address_space:  global
        .offset:         24
        .size:           8
        .value_kind:     global_buffer
      - .offset:         32
        .size:           8
        .value_kind:     by_value
      - .actual_access:  read_only
        .address_space:  global
        .offset:         40
        .size:           8
        .value_kind:     global_buffer
      - .actual_access:  read_only
        .address_space:  global
        .offset:         48
        .size:           8
        .value_kind:     global_buffer
      - .offset:         56
        .size:           4
        .value_kind:     by_value
      - .actual_access:  read_only
        .address_space:  global
        .offset:         64
        .size:           8
        .value_kind:     global_buffer
      - .actual_access:  read_only
        .address_space:  global
        .offset:         72
        .size:           8
        .value_kind:     global_buffer
      - .address_space:  global
        .offset:         80
        .size:           8
        .value_kind:     global_buffer
    .group_segment_fixed_size: 0
    .kernarg_segment_align: 8
    .kernarg_segment_size: 88
    .language:       OpenCL C
    .language_version:
      - 2
      - 0
    .max_flat_workgroup_size: 64
    .name:           fft_rtc_back_len480_factors_10_8_6_wgs_64_tpt_16_halfLds_sp_ip_CI_unitstride_sbrr_C2R_dirReg
    .private_segment_fixed_size: 0
    .sgpr_count:     26
    .sgpr_spill_count: 0
    .symbol:         fft_rtc_back_len480_factors_10_8_6_wgs_64_tpt_16_halfLds_sp_ip_CI_unitstride_sbrr_C2R_dirReg.kd
    .uniform_work_group_size: 1
    .uses_dynamic_stack: false
    .vgpr_count:     122
    .vgpr_spill_count: 0
    .wavefront_size: 64
amdhsa.target:   amdgcn-amd-amdhsa--gfx906
amdhsa.version:
  - 1
  - 2
...

	.end_amdgpu_metadata
